;; amdgpu-corpus repo=ROCm/rocFFT kind=compiled arch=gfx1201 opt=O3
	.text
	.amdgcn_target "amdgcn-amd-amdhsa--gfx1201"
	.amdhsa_code_object_version 6
	.protected	fft_rtc_back_len2401_factors_7_7_7_7_wgs_49_tpt_49_halfLds_sp_ip_CI_sbrr_dirReg ; -- Begin function fft_rtc_back_len2401_factors_7_7_7_7_wgs_49_tpt_49_halfLds_sp_ip_CI_sbrr_dirReg
	.globl	fft_rtc_back_len2401_factors_7_7_7_7_wgs_49_tpt_49_halfLds_sp_ip_CI_sbrr_dirReg
	.p2align	8
	.type	fft_rtc_back_len2401_factors_7_7_7_7_wgs_49_tpt_49_halfLds_sp_ip_CI_sbrr_dirReg,@function
fft_rtc_back_len2401_factors_7_7_7_7_wgs_49_tpt_49_halfLds_sp_ip_CI_sbrr_dirReg: ; @fft_rtc_back_len2401_factors_7_7_7_7_wgs_49_tpt_49_halfLds_sp_ip_CI_sbrr_dirReg
; %bb.0:
	s_clause 0x2
	s_load_b64 s[12:13], s[0:1], 0x18
	s_load_b128 s[4:7], s[0:1], 0x0
	s_load_b64 s[10:11], s[0:1], 0x50
	v_mul_u32_u24_e32 v1, 0x53a, v0
	v_mov_b32_e32 v3, 0
	s_delay_alu instid0(VALU_DEP_2) | instskip(NEXT) | instid1(VALU_DEP_1)
	v_lshrrev_b32_e32 v1, 16, v1
	v_add_nc_u32_e32 v5, ttmp9, v1
	v_mov_b32_e32 v1, 0
	v_mov_b32_e32 v2, 0
	;; [unrolled: 1-line block ×3, first 2 shown]
	s_wait_kmcnt 0x0
	s_load_b64 s[8:9], s[12:13], 0x0
	v_cmp_lt_u64_e64 s2, s[6:7], 2
	s_delay_alu instid0(VALU_DEP_1)
	s_and_b32 vcc_lo, exec_lo, s2
	s_cbranch_vccnz .LBB0_8
; %bb.1:
	s_load_b64 s[2:3], s[0:1], 0x10
	v_mov_b32_e32 v1, 0
	v_mov_b32_e32 v2, 0
	s_add_nc_u64 s[14:15], s[12:13], 8
	s_mov_b64 s[16:17], 1
	s_wait_kmcnt 0x0
	s_add_nc_u64 s[18:19], s[2:3], 8
	s_mov_b32 s3, 0
.LBB0_2:                                ; =>This Inner Loop Header: Depth=1
	s_load_b64 s[20:21], s[18:19], 0x0
                                        ; implicit-def: $vgpr7_vgpr8
	s_mov_b32 s2, exec_lo
	s_wait_kmcnt 0x0
	v_or_b32_e32 v4, s21, v6
	s_delay_alu instid0(VALU_DEP_1)
	v_cmpx_ne_u64_e32 0, v[3:4]
	s_wait_alu 0xfffe
	s_xor_b32 s22, exec_lo, s2
	s_cbranch_execz .LBB0_4
; %bb.3:                                ;   in Loop: Header=BB0_2 Depth=1
	s_cvt_f32_u32 s2, s20
	s_cvt_f32_u32 s23, s21
	s_sub_nc_u64 s[26:27], 0, s[20:21]
	s_wait_alu 0xfffe
	s_delay_alu instid0(SALU_CYCLE_1) | instskip(SKIP_1) | instid1(SALU_CYCLE_2)
	s_fmamk_f32 s2, s23, 0x4f800000, s2
	s_wait_alu 0xfffe
	v_s_rcp_f32 s2, s2
	s_delay_alu instid0(TRANS32_DEP_1) | instskip(SKIP_1) | instid1(SALU_CYCLE_2)
	s_mul_f32 s2, s2, 0x5f7ffffc
	s_wait_alu 0xfffe
	s_mul_f32 s23, s2, 0x2f800000
	s_wait_alu 0xfffe
	s_delay_alu instid0(SALU_CYCLE_2) | instskip(SKIP_1) | instid1(SALU_CYCLE_2)
	s_trunc_f32 s23, s23
	s_wait_alu 0xfffe
	s_fmamk_f32 s2, s23, 0xcf800000, s2
	s_cvt_u32_f32 s25, s23
	s_wait_alu 0xfffe
	s_delay_alu instid0(SALU_CYCLE_1) | instskip(SKIP_1) | instid1(SALU_CYCLE_2)
	s_cvt_u32_f32 s24, s2
	s_wait_alu 0xfffe
	s_mul_u64 s[28:29], s[26:27], s[24:25]
	s_wait_alu 0xfffe
	s_mul_hi_u32 s31, s24, s29
	s_mul_i32 s30, s24, s29
	s_mul_hi_u32 s2, s24, s28
	s_mul_i32 s33, s25, s28
	s_wait_alu 0xfffe
	s_add_nc_u64 s[30:31], s[2:3], s[30:31]
	s_mul_hi_u32 s23, s25, s28
	s_mul_hi_u32 s34, s25, s29
	s_add_co_u32 s2, s30, s33
	s_wait_alu 0xfffe
	s_add_co_ci_u32 s2, s31, s23
	s_mul_i32 s28, s25, s29
	s_add_co_ci_u32 s29, s34, 0
	s_wait_alu 0xfffe
	s_add_nc_u64 s[28:29], s[2:3], s[28:29]
	s_wait_alu 0xfffe
	v_add_co_u32 v4, s2, s24, s28
	s_delay_alu instid0(VALU_DEP_1) | instskip(SKIP_1) | instid1(VALU_DEP_1)
	s_cmp_lg_u32 s2, 0
	s_add_co_ci_u32 s25, s25, s29
	v_readfirstlane_b32 s24, v4
	s_wait_alu 0xfffe
	s_delay_alu instid0(VALU_DEP_1)
	s_mul_u64 s[26:27], s[26:27], s[24:25]
	s_wait_alu 0xfffe
	s_mul_hi_u32 s29, s24, s27
	s_mul_i32 s28, s24, s27
	s_mul_hi_u32 s2, s24, s26
	s_mul_i32 s30, s25, s26
	s_wait_alu 0xfffe
	s_add_nc_u64 s[28:29], s[2:3], s[28:29]
	s_mul_hi_u32 s23, s25, s26
	s_mul_hi_u32 s24, s25, s27
	s_wait_alu 0xfffe
	s_add_co_u32 s2, s28, s30
	s_add_co_ci_u32 s2, s29, s23
	s_mul_i32 s26, s25, s27
	s_add_co_ci_u32 s27, s24, 0
	s_wait_alu 0xfffe
	s_add_nc_u64 s[26:27], s[2:3], s[26:27]
	s_wait_alu 0xfffe
	v_add_co_u32 v4, s2, v4, s26
	s_delay_alu instid0(VALU_DEP_1) | instskip(SKIP_1) | instid1(VALU_DEP_1)
	s_cmp_lg_u32 s2, 0
	s_add_co_ci_u32 s2, s25, s27
	v_mul_hi_u32 v13, v5, v4
	s_wait_alu 0xfffe
	v_mad_co_u64_u32 v[7:8], null, v5, s2, 0
	v_mad_co_u64_u32 v[9:10], null, v6, v4, 0
	;; [unrolled: 1-line block ×3, first 2 shown]
	s_delay_alu instid0(VALU_DEP_3) | instskip(SKIP_1) | instid1(VALU_DEP_4)
	v_add_co_u32 v4, vcc_lo, v13, v7
	s_wait_alu 0xfffd
	v_add_co_ci_u32_e32 v7, vcc_lo, 0, v8, vcc_lo
	s_delay_alu instid0(VALU_DEP_2) | instskip(SKIP_1) | instid1(VALU_DEP_2)
	v_add_co_u32 v4, vcc_lo, v4, v9
	s_wait_alu 0xfffd
	v_add_co_ci_u32_e32 v4, vcc_lo, v7, v10, vcc_lo
	s_wait_alu 0xfffd
	v_add_co_ci_u32_e32 v7, vcc_lo, 0, v12, vcc_lo
	s_delay_alu instid0(VALU_DEP_2) | instskip(SKIP_1) | instid1(VALU_DEP_2)
	v_add_co_u32 v4, vcc_lo, v4, v11
	s_wait_alu 0xfffd
	v_add_co_ci_u32_e32 v9, vcc_lo, 0, v7, vcc_lo
	s_delay_alu instid0(VALU_DEP_2) | instskip(SKIP_1) | instid1(VALU_DEP_3)
	v_mul_lo_u32 v10, s21, v4
	v_mad_co_u64_u32 v[7:8], null, s20, v4, 0
	v_mul_lo_u32 v11, s20, v9
	s_delay_alu instid0(VALU_DEP_2) | instskip(NEXT) | instid1(VALU_DEP_2)
	v_sub_co_u32 v7, vcc_lo, v5, v7
	v_add3_u32 v8, v8, v11, v10
	s_delay_alu instid0(VALU_DEP_1) | instskip(SKIP_1) | instid1(VALU_DEP_1)
	v_sub_nc_u32_e32 v10, v6, v8
	s_wait_alu 0xfffd
	v_subrev_co_ci_u32_e64 v10, s2, s21, v10, vcc_lo
	v_add_co_u32 v11, s2, v4, 2
	s_wait_alu 0xf1ff
	v_add_co_ci_u32_e64 v12, s2, 0, v9, s2
	v_sub_co_u32 v13, s2, v7, s20
	v_sub_co_ci_u32_e32 v8, vcc_lo, v6, v8, vcc_lo
	s_wait_alu 0xf1ff
	v_subrev_co_ci_u32_e64 v10, s2, 0, v10, s2
	s_delay_alu instid0(VALU_DEP_3) | instskip(NEXT) | instid1(VALU_DEP_3)
	v_cmp_le_u32_e32 vcc_lo, s20, v13
	v_cmp_eq_u32_e64 s2, s21, v8
	s_wait_alu 0xfffd
	v_cndmask_b32_e64 v13, 0, -1, vcc_lo
	v_cmp_le_u32_e32 vcc_lo, s21, v10
	s_wait_alu 0xfffd
	v_cndmask_b32_e64 v14, 0, -1, vcc_lo
	v_cmp_le_u32_e32 vcc_lo, s20, v7
	;; [unrolled: 3-line block ×3, first 2 shown]
	s_wait_alu 0xfffd
	v_cndmask_b32_e64 v15, 0, -1, vcc_lo
	v_cmp_eq_u32_e32 vcc_lo, s21, v10
	s_wait_alu 0xf1ff
	s_delay_alu instid0(VALU_DEP_2)
	v_cndmask_b32_e64 v7, v15, v7, s2
	s_wait_alu 0xfffd
	v_cndmask_b32_e32 v10, v14, v13, vcc_lo
	v_add_co_u32 v13, vcc_lo, v4, 1
	s_wait_alu 0xfffd
	v_add_co_ci_u32_e32 v14, vcc_lo, 0, v9, vcc_lo
	s_delay_alu instid0(VALU_DEP_3) | instskip(SKIP_2) | instid1(VALU_DEP_3)
	v_cmp_ne_u32_e32 vcc_lo, 0, v10
	s_wait_alu 0xfffd
	v_cndmask_b32_e32 v10, v13, v11, vcc_lo
	v_cndmask_b32_e32 v8, v14, v12, vcc_lo
	v_cmp_ne_u32_e32 vcc_lo, 0, v7
	s_wait_alu 0xfffd
	s_delay_alu instid0(VALU_DEP_2)
	v_dual_cndmask_b32 v7, v4, v10 :: v_dual_cndmask_b32 v8, v9, v8
.LBB0_4:                                ;   in Loop: Header=BB0_2 Depth=1
	s_wait_alu 0xfffe
	s_and_not1_saveexec_b32 s2, s22
	s_cbranch_execz .LBB0_6
; %bb.5:                                ;   in Loop: Header=BB0_2 Depth=1
	v_cvt_f32_u32_e32 v4, s20
	s_sub_co_i32 s22, 0, s20
	s_delay_alu instid0(VALU_DEP_1) | instskip(NEXT) | instid1(TRANS32_DEP_1)
	v_rcp_iflag_f32_e32 v4, v4
	v_mul_f32_e32 v4, 0x4f7ffffe, v4
	s_delay_alu instid0(VALU_DEP_1) | instskip(SKIP_1) | instid1(VALU_DEP_1)
	v_cvt_u32_f32_e32 v4, v4
	s_wait_alu 0xfffe
	v_mul_lo_u32 v7, s22, v4
	s_delay_alu instid0(VALU_DEP_1) | instskip(NEXT) | instid1(VALU_DEP_1)
	v_mul_hi_u32 v7, v4, v7
	v_add_nc_u32_e32 v4, v4, v7
	s_delay_alu instid0(VALU_DEP_1) | instskip(NEXT) | instid1(VALU_DEP_1)
	v_mul_hi_u32 v4, v5, v4
	v_mul_lo_u32 v7, v4, s20
	v_add_nc_u32_e32 v8, 1, v4
	s_delay_alu instid0(VALU_DEP_2) | instskip(NEXT) | instid1(VALU_DEP_1)
	v_sub_nc_u32_e32 v7, v5, v7
	v_subrev_nc_u32_e32 v9, s20, v7
	v_cmp_le_u32_e32 vcc_lo, s20, v7
	s_wait_alu 0xfffd
	s_delay_alu instid0(VALU_DEP_2) | instskip(NEXT) | instid1(VALU_DEP_1)
	v_dual_cndmask_b32 v7, v7, v9 :: v_dual_cndmask_b32 v4, v4, v8
	v_cmp_le_u32_e32 vcc_lo, s20, v7
	s_delay_alu instid0(VALU_DEP_2) | instskip(SKIP_1) | instid1(VALU_DEP_1)
	v_add_nc_u32_e32 v8, 1, v4
	s_wait_alu 0xfffd
	v_dual_cndmask_b32 v7, v4, v8 :: v_dual_mov_b32 v8, v3
.LBB0_6:                                ;   in Loop: Header=BB0_2 Depth=1
	s_wait_alu 0xfffe
	s_or_b32 exec_lo, exec_lo, s2
	s_load_b64 s[22:23], s[14:15], 0x0
	s_delay_alu instid0(VALU_DEP_1)
	v_mul_lo_u32 v4, v8, s20
	v_mul_lo_u32 v11, v7, s21
	v_mad_co_u64_u32 v[9:10], null, v7, s20, 0
	s_add_nc_u64 s[16:17], s[16:17], 1
	s_add_nc_u64 s[14:15], s[14:15], 8
	s_wait_alu 0xfffe
	v_cmp_ge_u64_e64 s2, s[16:17], s[6:7]
	s_add_nc_u64 s[18:19], s[18:19], 8
	s_delay_alu instid0(VALU_DEP_2) | instskip(NEXT) | instid1(VALU_DEP_3)
	v_add3_u32 v4, v10, v11, v4
	v_sub_co_u32 v5, vcc_lo, v5, v9
	s_wait_alu 0xfffd
	s_delay_alu instid0(VALU_DEP_2) | instskip(SKIP_3) | instid1(VALU_DEP_2)
	v_sub_co_ci_u32_e32 v4, vcc_lo, v6, v4, vcc_lo
	s_and_b32 vcc_lo, exec_lo, s2
	s_wait_kmcnt 0x0
	v_mul_lo_u32 v6, s23, v5
	v_mul_lo_u32 v4, s22, v4
	v_mad_co_u64_u32 v[1:2], null, s22, v5, v[1:2]
	s_delay_alu instid0(VALU_DEP_1)
	v_add3_u32 v2, v6, v2, v4
	s_wait_alu 0xfffe
	s_cbranch_vccnz .LBB0_9
; %bb.7:                                ;   in Loop: Header=BB0_2 Depth=1
	v_dual_mov_b32 v5, v7 :: v_dual_mov_b32 v6, v8
	s_branch .LBB0_2
.LBB0_8:
	v_dual_mov_b32 v8, v6 :: v_dual_mov_b32 v7, v5
.LBB0_9:
	s_lshl_b64 s[2:3], s[6:7], 3
	v_mul_hi_u32 v3, 0x539782a, v0
	s_wait_alu 0xfffe
	s_add_nc_u64 s[2:3], s[12:13], s[2:3]
	s_load_b64 s[0:1], s[0:1], 0x20
	s_load_b64 s[2:3], s[2:3], 0x0
                                        ; implicit-def: $vgpr183
                                        ; implicit-def: $vgpr128
                                        ; implicit-def: $vgpr109
                                        ; implicit-def: $vgpr110
                                        ; implicit-def: $vgpr111
                                        ; implicit-def: $vgpr108
	s_delay_alu instid0(VALU_DEP_1) | instskip(NEXT) | instid1(VALU_DEP_1)
	v_mul_u32_u24_e32 v3, 49, v3
	v_sub_nc_u32_e32 v180, v0, v3
	s_delay_alu instid0(VALU_DEP_1)
	v_add_nc_u32_e32 v173, 49, v180
	v_add_nc_u32_e32 v165, 0x62, v180
	;; [unrolled: 1-line block ×4, first 2 shown]
	s_wait_kmcnt 0x0
	v_cmp_gt_u64_e32 vcc_lo, s[0:1], v[7:8]
	v_mul_lo_u32 v3, s2, v8
	v_mul_lo_u32 v4, s3, v7
	v_mad_co_u64_u32 v[0:1], null, s2, v7, v[1:2]
	v_cmp_le_u64_e64 s0, s[0:1], v[7:8]
	v_add_nc_u32_e32 v153, 0xf5, v180
	v_add_nc_u32_e32 v152, 0x126, v180
                                        ; implicit-def: $sgpr2_sgpr3
	s_delay_alu instid0(VALU_DEP_4) | instskip(NEXT) | instid1(VALU_DEP_4)
	v_add3_u32 v1, v4, v1, v3
	s_and_saveexec_b32 s1, s0
	s_wait_alu 0xfffe
	s_xor_b32 s0, exec_lo, s1
; %bb.10:
	v_add_nc_u32_e32 v183, 49, v180
	v_add_nc_u32_e32 v128, 0x62, v180
	;; [unrolled: 1-line block ×6, first 2 shown]
	s_mov_b64 s[2:3], 0
; %bb.11:
	s_wait_alu 0xfffe
	s_or_saveexec_b32 s1, s0
	v_lshlrev_b64_e32 v[76:77], 3, v[0:1]
	v_dual_mov_b32 v93, s3 :: v_dual_add_nc_u32 v182, 0x157, v180
	v_dual_mov_b32 v91, s3 :: v_dual_add_nc_u32 v178, 0x405, v180
	;; [unrolled: 1-line block ×12, first 2 shown]
	v_dual_mov_b32 v81, s3 :: v_dual_mov_b32 v80, s2
	v_dual_mov_b32 v92, s2 :: v_dual_add_nc_u32 v181, 0x2ae, v180
	v_dual_mov_b32 v90, s2 :: v_dual_add_nc_u32 v179, 0x55c, v180
	;; [unrolled: 1-line block ×12, first 2 shown]
	v_dual_mov_b32 v47, s3 :: v_dual_mov_b32 v46, s2
	v_dual_mov_b32 v45, s3 :: v_dual_mov_b32 v44, s2
	;; [unrolled: 1-line block ×15, first 2 shown]
                                        ; implicit-def: $vgpr13
                                        ; implicit-def: $vgpr11
                                        ; implicit-def: $vgpr9
                                        ; implicit-def: $vgpr27
                                        ; implicit-def: $vgpr25
                                        ; implicit-def: $vgpr23
                                        ; implicit-def: $vgpr41
                                        ; implicit-def: $vgpr39
                                        ; implicit-def: $vgpr37
                                        ; implicit-def: $vgpr55
                                        ; implicit-def: $vgpr53
                                        ; implicit-def: $vgpr51
                                        ; implicit-def: $vgpr69
                                        ; implicit-def: $vgpr67
                                        ; implicit-def: $vgpr65
                                        ; implicit-def: $vgpr87
                                        ; implicit-def: $vgpr85
                                        ; implicit-def: $vgpr83
                                        ; implicit-def: $vgpr99
                                        ; implicit-def: $vgpr97
                                        ; implicit-def: $vgpr95
	s_wait_alu 0xfffe
	s_xor_b32 exec_lo, exec_lo, s1
	s_cbranch_execz .LBB0_13
; %bb.12:
	v_mad_co_u64_u32 v[0:1], null, s8, v180, 0
	v_mad_co_u64_u32 v[2:3], null, s8, v182, 0
	;; [unrolled: 1-line block ×4, first 2 shown]
	v_add_co_u32 v44, s0, s10, v76
	s_delay_alu instid0(VALU_DEP_4)
	v_mad_co_u64_u32 v[6:7], null, s9, v180, v[1:2]
	v_mad_co_u64_u32 v[7:8], null, s8, v178, 0
	v_mov_b32_e32 v1, v5
	v_mad_co_u64_u32 v[9:10], null, s9, v182, v[3:4]
	s_wait_alu 0xf1ff
	v_add_co_ci_u32_e64 v45, s0, s11, v77, s0
	s_delay_alu instid0(VALU_DEP_3)
	v_mad_co_u64_u32 v[10:11], null, s9, v181, v[1:2]
	v_mad_co_u64_u32 v[11:12], null, s8, v179, 0
	v_dual_mov_b32 v1, v6 :: v_dual_mov_b32 v6, v8
	v_mov_b32_e32 v3, v9
	v_mad_co_u64_u32 v[15:16], null, s8, v176, 0
	v_mov_b32_e32 v5, v10
	s_delay_alu instid0(VALU_DEP_4) | instskip(SKIP_4) | instid1(VALU_DEP_4)
	v_mad_co_u64_u32 v[8:9], null, s9, v178, v[6:7]
	v_mov_b32_e32 v6, v12
	v_lshlrev_b64_e32 v[0:1], 3, v[0:1]
	v_mad_co_u64_u32 v[19:20], null, s8, v175, 0
	v_mad_co_u64_u32 v[21:22], null, s8, v174, 0
	;; [unrolled: 1-line block ×3, first 2 shown]
	v_lshlrev_b64_e32 v[7:8], 3, v[7:8]
	v_mov_b32_e32 v6, v14
	v_lshlrev_b64_e32 v[2:3], 3, v[2:3]
	v_add_co_u32 v0, s0, v44, v0
	s_wait_alu 0xf1ff
	v_add_co_ci_u32_e64 v1, s0, v45, v1, s0
	v_mov_b32_e32 v12, v9
	v_mad_co_u64_u32 v[17:18], null, s9, v177, v[6:7]
	v_lshlrev_b64_e32 v[4:5], 3, v[4:5]
	v_add_co_u32 v2, s0, v44, v2
	s_wait_alu 0xf1ff
	v_add_co_ci_u32_e64 v3, s0, v45, v3, s0
	v_mad_co_u64_u32 v[25:26], null, s8, v171, 0
	s_delay_alu instid0(VALU_DEP_4)
	v_add_co_u32 v4, s0, v44, v4
	v_mov_b32_e32 v14, v17
	v_mad_co_u64_u32 v[17:18], null, s8, v173, 0
	v_mov_b32_e32 v10, v16
	s_wait_alu 0xf1ff
	v_add_co_ci_u32_e64 v5, s0, v45, v5, s0
	v_add_co_u32 v6, s0, v44, v7
	s_wait_alu 0xf1ff
	v_add_co_ci_u32_e64 v7, s0, v45, v8, s0
	v_lshlrev_b64_e32 v[8:9], 3, v[11:12]
	v_mad_co_u64_u32 v[10:11], null, s9, v176, v[10:11]
	v_lshlrev_b64_e32 v[11:12], 3, v[13:14]
	v_mov_b32_e32 v13, v18
	v_mad_co_u64_u32 v[27:28], null, s8, v169, 0
	v_add_co_u32 v8, s0, v44, v8
	s_wait_alu 0xf1ff
	v_add_co_ci_u32_e64 v9, s0, v45, v9, s0
	v_mad_co_u64_u32 v[13:14], null, s9, v173, v[13:14]
	v_mov_b32_e32 v16, v10
	v_add_co_u32 v10, s0, v44, v11
	s_wait_alu 0xf1ff
	v_add_co_ci_u32_e64 v11, s0, v45, v12, s0
	v_mov_b32_e32 v12, v20
	v_lshlrev_b64_e32 v[14:15], 3, v[15:16]
	v_mov_b32_e32 v18, v13
	v_mov_b32_e32 v16, v22
	v_mad_co_u64_u32 v[56:57], null, s8, v156, 0
	v_mad_co_u64_u32 v[23:24], null, s9, v175, v[12:13]
	v_add_co_u32 v12, s0, v44, v14
	s_wait_alu 0xf1ff
	v_add_co_ci_u32_e64 v13, s0, v45, v15, s0
	v_lshlrev_b64_e32 v[14:15], 3, v[17:18]
	v_mad_co_u64_u32 v[16:17], null, s9, v174, v[16:17]
	v_mov_b32_e32 v20, v23
	v_mad_co_u64_u32 v[23:24], null, s8, v172, 0
	s_delay_alu instid0(VALU_DEP_4) | instskip(NEXT) | instid1(VALU_DEP_3)
	v_add_co_u32 v14, s0, v44, v14
	v_lshlrev_b64_e32 v[17:18], 3, v[19:20]
	s_wait_alu 0xf1ff
	v_add_co_ci_u32_e64 v15, s0, v45, v15, s0
	s_delay_alu instid0(VALU_DEP_4) | instskip(SKIP_1) | instid1(VALU_DEP_4)
	v_dual_mov_b32 v22, v16 :: v_dual_mov_b32 v19, v24
	v_mad_co_u64_u32 v[31:32], null, s8, v165, 0
	v_add_co_u32 v16, s0, v44, v17
	s_delay_alu instid0(VALU_DEP_3)
	v_mad_co_u64_u32 v[19:20], null, s9, v172, v[19:20]
	s_wait_alu 0xf1ff
	v_add_co_ci_u32_e64 v17, s0, v45, v18, s0
	v_mov_b32_e32 v18, v26
	v_lshlrev_b64_e32 v[20:21], 3, v[21:22]
	v_mov_b32_e32 v22, v28
	v_mad_co_u64_u32 v[33:34], null, s8, v168, 0
	s_delay_alu instid0(VALU_DEP_4) | instskip(SKIP_4) | instid1(VALU_DEP_3)
	v_mad_co_u64_u32 v[29:30], null, s9, v171, v[18:19]
	v_mov_b32_e32 v24, v19
	v_add_co_u32 v18, s0, v44, v20
	s_wait_alu 0xf1ff
	v_add_co_ci_u32_e64 v19, s0, v45, v21, s0
	v_lshlrev_b64_e32 v[20:21], 3, v[23:24]
	v_mov_b32_e32 v26, v29
	v_mad_co_u64_u32 v[29:30], null, s8, v170, 0
	v_mad_co_u64_u32 v[22:23], null, s9, v169, v[22:23]
	s_delay_alu instid0(VALU_DEP_3) | instskip(SKIP_3) | instid1(VALU_DEP_4)
	v_lshlrev_b64_e32 v[23:24], 3, v[25:26]
	v_add_co_u32 v20, s0, v44, v20
	s_wait_alu 0xf1ff
	v_add_co_ci_u32_e64 v21, s0, v45, v21, s0
	v_dual_mov_b32 v25, v30 :: v_dual_mov_b32 v28, v22
	s_delay_alu instid0(VALU_DEP_4) | instskip(SKIP_2) | instid1(VALU_DEP_3)
	v_add_co_u32 v22, s0, v44, v23
	s_wait_alu 0xf1ff
	v_add_co_ci_u32_e64 v23, s0, v45, v24, s0
	v_mad_co_u64_u32 v[25:26], null, s9, v170, v[25:26]
	v_mov_b32_e32 v24, v32
	v_lshlrev_b64_e32 v[26:27], 3, v[27:28]
	v_dual_mov_b32 v28, v34 :: v_dual_add_nc_u32 v67, 0x21b, v180
	v_mad_co_u64_u32 v[37:38], null, s8, v166, 0
	s_delay_alu instid0(VALU_DEP_4) | instskip(SKIP_4) | instid1(VALU_DEP_3)
	v_mad_co_u64_u32 v[35:36], null, s9, v165, v[24:25]
	v_mov_b32_e32 v30, v25
	v_add_co_u32 v24, s0, v44, v26
	s_wait_alu 0xf1ff
	v_add_co_ci_u32_e64 v25, s0, v45, v27, s0
	v_lshlrev_b64_e32 v[26:27], 3, v[29:30]
	v_mov_b32_e32 v32, v35
	v_mad_co_u64_u32 v[35:36], null, s8, v167, 0
	v_mad_co_u64_u32 v[28:29], null, s9, v168, v[28:29]
	s_delay_alu instid0(VALU_DEP_3) | instskip(SKIP_3) | instid1(VALU_DEP_4)
	v_lshlrev_b64_e32 v[29:30], 3, v[31:32]
	v_add_co_u32 v26, s0, v44, v26
	s_wait_alu 0xf1ff
	v_add_co_ci_u32_e64 v27, s0, v45, v27, s0
	v_dual_mov_b32 v31, v36 :: v_dual_mov_b32 v34, v28
	s_delay_alu instid0(VALU_DEP_4) | instskip(SKIP_2) | instid1(VALU_DEP_3)
	v_add_co_u32 v28, s0, v44, v29
	s_wait_alu 0xf1ff
	v_add_co_ci_u32_e64 v29, s0, v45, v30, s0
	v_mad_co_u64_u32 v[31:32], null, s9, v167, v[31:32]
	v_mov_b32_e32 v30, v38
	v_mad_co_u64_u32 v[39:40], null, s8, v164, 0
	v_lshlrev_b64_e32 v[32:33], 3, v[33:34]
	v_add_nc_u32_e32 v69, 0x620, v180
	v_mad_co_u64_u32 v[46:47], null, s8, v162, 0
	v_mad_co_u64_u32 v[41:42], null, s9, v166, v[30:31]
	v_mov_b32_e32 v36, v31
	v_mov_b32_e32 v34, v40
	v_add_co_u32 v30, s0, v44, v32
	s_wait_alu 0xf1ff
	v_add_co_ci_u32_e64 v31, s0, v45, v33, s0
	v_mov_b32_e32 v38, v41
	v_mad_co_u64_u32 v[41:42], null, s8, v163, 0
	v_lshlrev_b64_e32 v[32:33], 3, v[35:36]
	v_mad_co_u64_u32 v[34:35], null, s9, v164, v[34:35]
	s_delay_alu instid0(VALU_DEP_4)
	v_lshlrev_b64_e32 v[35:36], 3, v[37:38]
	v_mad_co_u64_u32 v[48:49], null, s8, v158, 0
	v_mov_b32_e32 v37, v42
	v_add_co_u32 v32, s0, v44, v32
	s_wait_alu 0xf1ff
	v_add_co_ci_u32_e64 v33, s0, v45, v33, s0
	s_delay_alu instid0(VALU_DEP_3)
	v_mad_co_u64_u32 v[37:38], null, s9, v163, v[37:38]
	v_mov_b32_e32 v40, v34
	v_add_co_u32 v34, s0, v44, v35
	s_wait_alu 0xf1ff
	v_add_co_ci_u32_e64 v35, s0, v45, v36, s0
	v_mov_b32_e32 v36, v47
	v_lshlrev_b64_e32 v[38:39], 3, v[39:40]
	v_mov_b32_e32 v42, v37
	v_dual_mov_b32 v40, v49 :: v_dual_add_nc_u32 v71, 0x7a8, v180
	s_delay_alu instid0(VALU_DEP_4) | instskip(NEXT) | instid1(VALU_DEP_4)
	v_mad_co_u64_u32 v[50:51], null, s9, v162, v[36:37]
	v_add_co_u32 v36, s0, v44, v38
	s_wait_alu 0xf1ff
	v_add_co_ci_u32_e64 v37, s0, v45, v39, s0
	v_lshlrev_b64_e32 v[38:39], 3, v[41:42]
	v_mad_co_u64_u32 v[40:41], null, s9, v158, v[40:41]
	v_mov_b32_e32 v47, v50
	v_mad_co_u64_u32 v[50:51], null, s8, v161, 0
	s_delay_alu instid0(VALU_DEP_4) | instskip(NEXT) | instid1(VALU_DEP_3)
	v_add_co_u32 v38, s0, v44, v38
	v_lshlrev_b64_e32 v[41:42], 3, v[46:47]
	v_mad_co_u64_u32 v[46:47], null, s8, v159, 0
	s_wait_alu 0xf1ff
	v_add_co_ci_u32_e64 v39, s0, v45, v39, s0
	v_mov_b32_e32 v43, v51
	v_mov_b32_e32 v49, v40
	v_add_co_u32 v40, s0, v44, v41
	s_wait_alu 0xf1ff
	v_add_co_ci_u32_e64 v41, s0, v45, v42, s0
	v_mov_b32_e32 v42, v47
	v_mad_co_u64_u32 v[51:52], null, s9, v161, v[43:44]
	v_lshlrev_b64_e32 v[47:48], 3, v[48:49]
	v_mad_co_u64_u32 v[52:53], null, s8, v160, 0
	s_delay_alu instid0(VALU_DEP_4) | instskip(SKIP_1) | instid1(VALU_DEP_4)
	v_mad_co_u64_u32 v[54:55], null, s9, v159, v[42:43]
	v_mad_co_u64_u32 v[58:59], null, s8, v155, 0
	v_add_co_u32 v42, s0, v44, v47
	s_wait_alu 0xf1ff
	v_add_co_ci_u32_e64 v43, s0, v45, v48, s0
	v_lshlrev_b64_e32 v[48:49], 3, v[50:51]
	v_dual_mov_b32 v50, v53 :: v_dual_mov_b32 v47, v54
	v_mad_co_u64_u32 v[54:55], null, s8, v157, 0
	v_mad_co_u64_u32 v[62:63], null, s8, v67, 0
	s_delay_alu instid0(VALU_DEP_3) | instskip(NEXT) | instid1(VALU_DEP_4)
	v_mad_co_u64_u32 v[50:51], null, s9, v160, v[50:51]
	v_lshlrev_b64_e32 v[46:47], 3, v[46:47]
	v_add_co_u32 v48, s0, v44, v48
	v_mov_b32_e32 v51, v55
	s_wait_alu 0xf1ff
	v_add_co_ci_u32_e64 v49, s0, v45, v49, s0
	v_mov_b32_e32 v53, v50
	v_add_co_u32 v46, s0, v44, v46
	v_mad_co_u64_u32 v[50:51], null, s9, v157, v[51:52]
	s_delay_alu instid0(VALU_DEP_3)
	v_lshlrev_b64_e32 v[52:53], 3, v[52:53]
	v_mov_b32_e32 v51, v57
	s_wait_alu 0xf1ff
	v_add_co_ci_u32_e64 v47, s0, v45, v47, s0
	v_add_nc_u32_e32 v68, 0x372, v180
	v_add_nc_u32_e32 v70, 0x777, v180
	v_mad_co_u64_u32 v[60:61], null, s9, v156, v[51:52]
	v_mov_b32_e32 v55, v50
	v_add_co_u32 v50, s0, v44, v52
	s_wait_alu 0xf1ff
	v_add_co_ci_u32_e64 v51, s0, v45, v53, s0
	s_delay_alu instid0(VALU_DEP_3) | instskip(SKIP_3) | instid1(VALU_DEP_3)
	v_lshlrev_b64_e32 v[52:53], 3, v[54:55]
	v_dual_mov_b32 v54, v59 :: v_dual_mov_b32 v57, v60
	v_mad_co_u64_u32 v[60:61], null, s8, v154, 0
	v_mov_b32_e32 v183, v173
	v_mad_co_u64_u32 v[54:55], null, s9, v155, v[54:55]
	s_delay_alu instid0(VALU_DEP_4)
	v_lshlrev_b64_e32 v[55:56], 3, v[56:57]
	v_add_co_u32 v52, s0, v44, v52
	v_mov_b32_e32 v57, v61
	s_wait_alu 0xf1ff
	v_add_co_ci_u32_e64 v53, s0, v45, v53, s0
	v_mov_b32_e32 v59, v54
	v_add_co_u32 v54, s0, v44, v55
	v_mad_co_u64_u32 v[64:65], null, s9, v154, v[57:58]
	v_mad_co_u64_u32 v[65:66], null, s8, v68, 0
	s_wait_alu 0xf1ff
	v_add_co_ci_u32_e64 v55, s0, v45, v56, s0
	v_lshlrev_b64_e32 v[56:57], 3, v[58:59]
	s_delay_alu instid0(VALU_DEP_4) | instskip(NEXT) | instid1(VALU_DEP_1)
	v_dual_mov_b32 v58, v63 :: v_dual_mov_b32 v61, v64
	v_mad_co_u64_u32 v[58:59], null, s9, v67, v[58:59]
	s_delay_alu instid0(VALU_DEP_3) | instskip(SKIP_4) | instid1(VALU_DEP_3)
	v_add_co_u32 v100, s0, v44, v56
	v_dual_mov_b32 v56, v66 :: v_dual_add_nc_u32 v67, 0x4c9, v180
	s_wait_alu 0xf1ff
	v_add_co_ci_u32_e64 v101, s0, v45, v57, s0
	v_lshlrev_b64_e32 v[59:60], 3, v[60:61]
	v_mad_co_u64_u32 v[56:57], null, s9, v68, v[56:57]
	v_mov_b32_e32 v63, v58
	v_mad_co_u64_u32 v[57:58], null, s8, v67, 0
	s_delay_alu instid0(VALU_DEP_4)
	v_add_co_u32 v102, s0, v44, v59
	s_wait_alu 0xf1ff
	v_add_co_ci_u32_e64 v103, s0, v45, v60, s0
	v_lshlrev_b64_e32 v[59:60], 3, v[62:63]
	v_mad_co_u64_u32 v[61:62], null, s8, v69, 0
	v_mov_b32_e32 v66, v56
	v_mov_b32_e32 v56, v58
	v_mad_co_u64_u32 v[63:64], null, s8, v70, 0
	v_add_co_u32 v104, s0, v44, v59
	s_delay_alu instid0(VALU_DEP_3)
	v_mad_co_u64_u32 v[67:68], null, s9, v67, v[56:57]
	v_mov_b32_e32 v56, v62
	s_wait_alu 0xf1ff
	v_add_co_ci_u32_e64 v105, s0, v45, v60, s0
	v_mov_b32_e32 v62, v64
	v_lshlrev_b64_e32 v[59:60], 3, v[65:66]
	v_mad_co_u64_u32 v[64:65], null, s9, v69, v[56:57]
	v_mov_b32_e32 v58, v67
	s_delay_alu instid0(VALU_DEP_4) | instskip(SKIP_2) | instid1(VALU_DEP_4)
	v_mad_co_u64_u32 v[65:66], null, s9, v70, v[62:63]
	v_add_nc_u32_e32 v67, 0x8ce, v180
	v_add_co_u32 v106, s0, v44, v59
	v_lshlrev_b64_e32 v[56:57], 3, v[57:58]
	v_mov_b32_e32 v62, v64
	s_wait_alu 0xf1ff
	v_add_co_ci_u32_e64 v107, s0, v45, v60, s0
	v_mov_b32_e32 v64, v65
	v_mad_co_u64_u32 v[58:59], null, s8, v67, 0
	v_add_co_u32 v108, s0, v44, v56
	s_wait_alu 0xf1ff
	v_add_co_ci_u32_e64 v109, s0, v45, v57, s0
	v_lshlrev_b64_e32 v[56:57], 3, v[61:62]
	v_lshlrev_b64_e32 v[60:61], 3, v[63:64]
	v_mad_co_u64_u32 v[65:66], null, s8, v153, 0
	v_add_nc_u32_e32 v69, 0x24c, v180
	v_add_nc_u32_e32 v70, 0x4fa, v180
	v_add_co_u32 v110, s0, v44, v56
	v_mad_co_u64_u32 v[63:64], null, s9, v67, v[59:60]
	v_mov_b32_e32 v62, v66
	s_wait_alu 0xf1ff
	v_add_co_ci_u32_e64 v111, s0, v45, v57, s0
	v_add_co_u32 v112, s0, v44, v60
	v_add_nc_u32_e32 v64, 0x3a3, v180
	v_mad_co_u64_u32 v[66:67], null, s9, v153, v[62:63]
	v_mad_co_u64_u32 v[67:68], null, s8, v69, 0
	v_mov_b32_e32 v59, v63
	s_wait_alu 0xf1ff
	v_add_co_ci_u32_e64 v113, s0, v45, v61, s0
	v_mad_co_u64_u32 v[56:57], null, s8, v64, 0
	s_delay_alu instid0(VALU_DEP_3) | instskip(SKIP_1) | instid1(VALU_DEP_1)
	v_lshlrev_b64_e32 v[58:59], 3, v[58:59]
	v_mov_b32_e32 v60, v68
	v_mad_co_u64_u32 v[60:61], null, s9, v69, v[60:61]
	v_mad_co_u64_u32 v[61:62], null, s8, v70, 0
	s_delay_alu instid0(VALU_DEP_4)
	v_mad_co_u64_u32 v[63:64], null, s9, v64, v[57:58]
	v_add_co_u32 v114, s0, v44, v58
	v_lshlrev_b64_e32 v[64:65], 3, v[65:66]
	v_add_nc_u32_e32 v66, 0x651, v180
	v_mov_b32_e32 v58, v62
	s_wait_alu 0xf1ff
	v_add_co_ci_u32_e64 v115, s0, v45, v59, s0
	v_dual_mov_b32 v68, v60 :: v_dual_mov_b32 v57, v63
	s_delay_alu instid0(VALU_DEP_3)
	v_mad_co_u64_u32 v[58:59], null, s9, v70, v[58:59]
	v_mad_co_u64_u32 v[59:60], null, s8, v66, 0
	;; [unrolled: 1-line block ×3, first 2 shown]
	v_add_co_u32 v116, s0, v44, v64
	v_lshlrev_b64_e32 v[63:64], 3, v[67:68]
	v_mov_b32_e32 v62, v58
	v_mov_b32_e32 v58, v60
	s_wait_alu 0xf1ff
	v_add_co_ci_u32_e64 v117, s0, v45, v65, s0
	v_mov_b32_e32 v60, v70
	v_add_co_u32 v118, s0, v44, v63
	s_wait_alu 0xf1ff
	v_add_co_ci_u32_e64 v119, s0, v45, v64, s0
	v_mad_co_u64_u32 v[63:64], null, s9, v66, v[58:59]
	v_mad_co_u64_u32 v[64:65], null, s9, v71, v[60:61]
	v_lshlrev_b64_e32 v[56:57], 3, v[56:57]
	v_add_nc_u32_e32 v65, 0x8ff, v180
	v_lshlrev_b64_e32 v[61:62], 3, v[61:62]
	v_add_nc_u32_e32 v68, 0x27d, v180
	v_dual_mov_b32 v60, v63 :: v_dual_add_nc_u32 v71, 0x930, v180
	v_mov_b32_e32 v70, v64
	v_mad_co_u64_u32 v[63:64], null, s8, v152, 0
	v_add_co_u32 v120, s0, v44, v56
	s_wait_alu 0xf1ff
	v_add_co_ci_u32_e64 v121, s0, v45, v57, s0
	v_mad_co_u64_u32 v[56:57], null, s8, v65, 0
	v_add_co_u32 v122, s0, v44, v61
	v_lshlrev_b64_e32 v[58:59], 3, v[59:60]
	s_wait_alu 0xf1ff
	v_add_co_ci_u32_e64 v123, s0, v45, v62, s0
	v_mov_b32_e32 v62, v64
	v_lshlrev_b64_e32 v[60:61], 3, v[69:70]
	v_add_nc_u32_e32 v69, 0x682, v180
	v_mad_co_u64_u32 v[64:65], null, s9, v65, v[57:58]
	s_delay_alu instid0(VALU_DEP_4) | instskip(SKIP_2) | instid1(VALU_DEP_4)
	v_mad_co_u64_u32 v[65:66], null, s9, v152, v[62:63]
	v_mad_co_u64_u32 v[66:67], null, s8, v68, 0
	v_add_co_u32 v124, s0, v44, v58
	v_mov_b32_e32 v57, v64
	s_wait_alu 0xf1ff
	v_add_co_ci_u32_e64 v125, s0, v45, v59, s0
	v_mov_b32_e32 v64, v65
	v_dual_mov_b32 v58, v67 :: v_dual_add_nc_u32 v65, 0x3d4, v180
	v_add_co_u32 v126, s0, v44, v60
	v_lshlrev_b64_e32 v[56:57], 3, v[56:57]
	s_delay_alu instid0(VALU_DEP_3) | instskip(NEXT) | instid1(VALU_DEP_4)
	v_mad_co_u64_u32 v[58:59], null, s9, v68, v[58:59]
	v_mad_co_u64_u32 v[59:60], null, s8, v65, 0
	v_add_nc_u32_e32 v68, 0x52b, v180
	s_wait_alu 0xf1ff
	v_add_co_ci_u32_e64 v127, s0, v45, v61, s0
	v_add_co_u32 v128, s0, v44, v56
	s_delay_alu instid0(VALU_DEP_4)
	v_dual_mov_b32 v67, v58 :: v_dual_mov_b32 v58, v60
	s_wait_alu 0xf1ff
	v_add_co_ci_u32_e64 v129, s0, v45, v57, s0
	v_lshlrev_b64_e32 v[56:57], 3, v[63:64]
	v_mad_co_u64_u32 v[61:62], null, s8, v68, 0
	v_mad_co_u64_u32 v[63:64], null, s9, v65, v[58:59]
	;; [unrolled: 1-line block ×3, first 2 shown]
	s_delay_alu instid0(VALU_DEP_4)
	v_add_co_u32 v130, s0, v44, v56
	s_wait_alu 0xf1ff
	v_add_co_ci_u32_e64 v131, s0, v45, v57, s0
	v_lshlrev_b64_e32 v[57:58], 3, v[66:67]
	v_mov_b32_e32 v56, v62
	v_mov_b32_e32 v60, v63
	v_dual_mov_b32 v62, v65 :: v_dual_add_nc_u32 v63, 0x7d9, v180
	s_delay_alu instid0(VALU_DEP_3) | instskip(SKIP_1) | instid1(VALU_DEP_3)
	v_mad_co_u64_u32 v[65:66], null, s9, v68, v[56:57]
	v_add_co_u32 v132, s0, v44, v57
	v_mad_co_u64_u32 v[66:67], null, s9, v69, v[62:63]
	v_mad_co_u64_u32 v[67:68], null, s8, v63, 0
	;; [unrolled: 1-line block ×3, first 2 shown]
	v_mov_b32_e32 v62, v65
	s_wait_alu 0xf1ff
	v_add_co_ci_u32_e64 v133, s0, v45, v58, s0
	v_lshlrev_b64_e32 v[56:57], 3, v[59:60]
	v_mov_b32_e32 v58, v68
	v_lshlrev_b64_e32 v[60:61], 3, v[61:62]
	v_mov_b32_e32 v59, v70
	v_mov_b32_e32 v65, v66
	v_add_co_u32 v134, s0, v44, v56
	s_delay_alu instid0(VALU_DEP_3)
	v_mad_co_u64_u32 v[62:63], null, s9, v63, v[58:59]
	v_mad_co_u64_u32 v[58:59], null, s9, v71, v[59:60]
	s_wait_alu 0xf1ff
	v_add_co_ci_u32_e64 v135, s0, v45, v57, s0
	v_lshlrev_b64_e32 v[56:57], 3, v[64:65]
	v_add_co_u32 v136, s0, v44, v60
	v_mov_b32_e32 v68, v62
	v_mov_b32_e32 v70, v58
	s_wait_alu 0xf1ff
	v_add_co_ci_u32_e64 v137, s0, v45, v61, s0
	v_add_co_u32 v138, s0, v44, v56
	v_lshlrev_b64_e32 v[58:59], 3, v[67:68]
	s_wait_alu 0xf1ff
	v_add_co_ci_u32_e64 v139, s0, v45, v57, s0
	v_lshlrev_b64_e32 v[56:57], 3, v[69:70]
	s_delay_alu instid0(VALU_DEP_3) | instskip(SKIP_2) | instid1(VALU_DEP_3)
	v_add_co_u32 v140, s0, v44, v58
	s_wait_alu 0xf1ff
	v_add_co_ci_u32_e64 v141, s0, v45, v59, s0
	v_add_co_u32 v142, s0, v44, v56
	s_wait_alu 0xf1ff
	v_add_co_ci_u32_e64 v143, s0, v45, v57, s0
	s_clause 0x1f
	global_load_b64 v[88:89], v[0:1], off
	global_load_b64 v[80:81], v[2:3], off
	;; [unrolled: 1-line block ×32, first 2 shown]
	s_clause 0x10
	global_load_b64 v[30:31], v[110:111], off
	global_load_b64 v[38:39], v[112:113], off
	;; [unrolled: 1-line block ×17, first 2 shown]
	v_dual_mov_b32 v108, v152 :: v_dual_mov_b32 v111, v153
	v_dual_mov_b32 v110, v154 :: v_dual_mov_b32 v109, v158
	v_mov_b32_e32 v128, v165
.LBB0_13:
	s_or_b32 exec_lo, exec_lo, s1
	s_wait_loadcnt 0x2a
	v_dual_add_f32 v100, v98, v80 :: v_dual_add_f32 v101, v99, v81
	v_dual_sub_f32 v80, v80, v98 :: v_dual_sub_f32 v81, v81, v99
	v_dual_add_f32 v98, v96, v92 :: v_dual_add_f32 v99, v97, v93
	v_dual_sub_f32 v92, v92, v96 :: v_dual_sub_f32 v93, v93, v97
	;; [unrolled: 2-line block ×3, first 2 shown]
	s_delay_alu instid0(VALU_DEP_4) | instskip(SKIP_1) | instid1(VALU_DEP_4)
	v_dual_add_f32 v94, v100, v98 :: v_dual_add_f32 v95, v101, v99
	v_dual_sub_f32 v102, v98, v100 :: v_dual_sub_f32 v103, v99, v101
	v_dual_sub_f32 v100, v100, v96 :: v_dual_sub_f32 v101, v101, v97
	;; [unrolled: 1-line block ×3, first 2 shown]
	v_dual_add_f32 v104, v92, v90 :: v_dual_add_f32 v105, v93, v91
	v_dual_sub_f32 v106, v90, v92 :: v_dual_sub_f32 v107, v91, v93
	v_dual_sub_f32 v92, v92, v80 :: v_dual_add_f32 v95, v95, v97
	v_dual_add_f32 v94, v94, v96 :: v_dual_sub_f32 v93, v93, v81
	v_dual_sub_f32 v90, v80, v90 :: v_dual_sub_f32 v91, v81, v91
	v_dual_add_f32 v96, v80, v104 :: v_dual_add_f32 v97, v81, v105
	s_delay_alu instid0(VALU_DEP_3)
	v_dual_add_f32 v80, v94, v88 :: v_dual_add_f32 v81, v95, v89
	v_dual_mul_f32 v88, 0x3f4a47b2, v100 :: v_dual_mul_f32 v89, 0x3f4a47b2, v101
	v_dual_mul_f32 v98, 0x3d64c772, v98 :: v_dual_mul_f32 v99, 0x3d64c772, v99
	;; [unrolled: 1-line block ×4, first 2 shown]
	v_dual_fmamk_f32 v94, v94, 0xbf955555, v80 :: v_dual_fmamk_f32 v95, v95, 0xbf955555, v81
	s_delay_alu instid0(VALU_DEP_4)
	v_dual_fmamk_f32 v100, v100, 0x3f4a47b2, v98 :: v_dual_fmamk_f32 v101, v101, 0x3f4a47b2, v99
	v_fma_f32 v98, 0x3f3bfb3b, v102, -v98
	v_fma_f32 v99, 0x3f3bfb3b, v103, -v99
	;; [unrolled: 1-line block ×4, first 2 shown]
	v_dual_fmamk_f32 v102, v90, 0xbeae86e6, v104 :: v_dual_fmamk_f32 v103, v91, 0xbeae86e6, v105
	v_fma_f32 v104, 0xbf5ff5aa, v92, -v104
	v_fma_f32 v93, 0xbf5ff5aa, v93, -v105
	;; [unrolled: 1-line block ×4, first 2 shown]
	v_dual_add_f32 v100, v100, v94 :: v_dual_add_f32 v101, v101, v95
	v_dual_fmac_f32 v102, 0xbee1c552, v96 :: v_dual_fmac_f32 v103, 0xbee1c552, v97
	v_dual_add_f32 v98, v98, v94 :: v_dual_add_f32 v99, v99, v95
	v_dual_add_f32 v94, v88, v94 :: v_dual_add_f32 v95, v89, v95
	v_dual_fmac_f32 v104, 0xbee1c552, v96 :: v_dual_fmac_f32 v93, 0xbee1c552, v97
	v_dual_fmac_f32 v106, 0xbee1c552, v97 :: v_dual_fmac_f32 v105, 0xbee1c552, v96
	v_dual_add_f32 v88, v100, v103 :: v_dual_sub_f32 v89, v101, v102
	v_sub_f32_e32 v116, v100, v103
	s_wait_loadcnt 0x23
	v_add_f32_e32 v96, v86, v78
	v_sub_f32_e32 v78, v78, v86
	v_add_f32_e32 v86, v84, v74
	v_add_f32_e32 v100, v87, v79
	v_sub_f32_e32 v79, v79, v87
	v_add_f32_e32 v87, v85, v75
	v_dual_add_f32 v91, v94, v106 :: v_dual_sub_f32 v90, v95, v105
	v_dual_sub_f32 v97, v98, v93 :: v_dual_add_f32 v92, v104, v99
	v_dual_add_f32 v98, v98, v93 :: v_dual_sub_f32 v93, v99, v104
	v_dual_sub_f32 v99, v94, v106 :: v_dual_add_f32 v94, v105, v95
	v_add_f32_e32 v95, v102, v101
	v_dual_sub_f32 v74, v74, v84 :: v_dual_sub_f32 v75, v75, v85
	v_dual_add_f32 v85, v83, v73 :: v_dual_add_f32 v84, v82, v72
	v_sub_f32_e32 v73, v73, v83
	v_sub_f32_e32 v101, v86, v96
	v_dual_add_f32 v83, v100, v87 :: v_dual_sub_f32 v102, v87, v100
	s_delay_alu instid0(VALU_DEP_4) | instskip(SKIP_2) | instid1(VALU_DEP_4)
	v_dual_sub_f32 v72, v72, v82 :: v_dual_sub_f32 v87, v85, v87
	v_add_f32_e32 v82, v96, v86
	v_dual_sub_f32 v96, v96, v84 :: v_dual_sub_f32 v107, v79, v73
	v_dual_sub_f32 v86, v84, v86 :: v_dual_add_f32 v83, v83, v85
	s_delay_alu instid0(VALU_DEP_4) | instskip(SKIP_1) | instid1(VALU_DEP_3)
	v_dual_add_f32 v103, v74, v72 :: v_dual_add_f32 v104, v75, v73
	v_dual_sub_f32 v105, v72, v74 :: v_dual_sub_f32 v106, v73, v75
	v_dual_sub_f32 v72, v78, v72 :: v_dual_add_f32 v73, v83, v71
	v_dual_sub_f32 v74, v74, v78 :: v_dual_mul_f32 v71, 0x3f4a47b2, v96
	v_add_f32_e32 v82, v82, v84
	v_dual_sub_f32 v100, v100, v85 :: v_dual_sub_f32 v75, v75, v79
	v_dual_add_f32 v78, v78, v103 :: v_dual_mul_f32 v85, 0x3d64c772, v86
	s_delay_alu instid0(VALU_DEP_3)
	v_add_f32_e32 v70, v82, v70
	v_fma_f32 v71, 0xbf3bfb3b, v101, -v71
	v_mul_f32_e32 v86, 0x3d64c772, v87
	v_mul_f32_e32 v87, 0x3f08b237, v105
	;; [unrolled: 1-line block ×3, first 2 shown]
	v_dual_fmamk_f32 v82, v82, 0xbf955555, v70 :: v_dual_fmamk_f32 v83, v83, 0xbf955555, v73
	v_fmamk_f32 v96, v96, 0x3f4a47b2, v85
	v_fma_f32 v85, 0x3f3bfb3b, v101, -v85
	v_fmamk_f32 v101, v72, 0xbeae86e6, v87
	v_fma_f32 v87, 0xbf5ff5aa, v74, -v87
	v_add_f32_e32 v79, v79, v104
	s_delay_alu instid0(VALU_DEP_4) | instskip(SKIP_1) | instid1(VALU_DEP_4)
	v_dual_mul_f32 v84, 0x3f4a47b2, v100 :: v_dual_add_f32 v85, v85, v82
	v_add_f32_e32 v71, v71, v82
	v_fmac_f32_e32 v87, 0xbee1c552, v78
	v_fmamk_f32 v100, v100, 0x3f4a47b2, v86
	v_mul_f32_e32 v103, 0x3f08b237, v106
	v_fma_f32 v86, 0x3f3bfb3b, v102, -v86
	v_fma_f32 v84, 0xbf3bfb3b, v102, -v84
	v_lshl_add_u32 v184, v180, 2, 0
	v_add_f32_e32 v100, v100, v83
	v_fmamk_f32 v102, v107, 0xbeae86e6, v103
	v_fma_f32 v103, 0xbf5ff5aa, v75, -v103
	v_dual_add_f32 v86, v86, v83 :: v_dual_fmac_f32 v101, 0xbee1c552, v78
	v_lshl_add_u32 v188, v183, 2, 0
	v_lshl_add_u32 v192, v128, 2, 0
	s_delay_alu instid0(VALU_DEP_4)
	v_fmac_f32_e32 v103, 0xbee1c552, v79
	v_add_nc_u32_e32 v189, 0x1400, v184
	v_add_nc_u32_e32 v187, 0x1800, v184
	;; [unrolled: 1-line block ×4, first 2 shown]
	v_dual_sub_f32 v125, v85, v103 :: v_dual_add_f32 v96, v96, v82
	v_add_f32_e32 v82, v84, v83
	v_mul_f32_e32 v104, 0xbf5ff5aa, v74
	v_sub_f32_e32 v74, v100, v101
	v_add_f32_e32 v126, v85, v103
	s_wait_loadcnt 0x1c
	v_add_f32_e32 v85, v69, v63
	v_sub_f32_e32 v63, v63, v69
	v_add_f32_e32 v69, v67, v61
	v_fma_f32 v72, 0x3eae86e6, v72, -v104
	v_fma_f32 v104, 0x3eae86e6, v107, -v105
	v_sub_f32_e32 v61, v61, v67
	v_add_f32_e32 v67, v65, v59
	s_delay_alu instid0(VALU_DEP_4) | instskip(NEXT) | instid1(VALU_DEP_4)
	v_dual_sub_f32 v59, v59, v65 :: v_dual_fmac_f32 v72, 0xbee1c552, v78
	v_fmac_f32_e32 v104, 0xbee1c552, v79
	v_add_f32_e32 v78, v87, v86
	v_add_f32_e32 v84, v101, v100
	;; [unrolled: 1-line block ×3, first 2 shown]
	v_dual_add_f32 v83, v72, v82 :: v_dual_fmac_f32 v102, 0xbee1c552, v79
	v_add_f32_e32 v124, v71, v104
	v_sub_f32_e32 v75, v82, v72
	v_dual_sub_f32 v71, v71, v104 :: v_dual_add_f32 v82, v68, v62
	s_delay_alu instid0(VALU_DEP_4)
	v_sub_f32_e32 v72, v96, v102
	v_dual_add_f32 v123, v96, v102 :: v_dual_sub_f32 v62, v62, v68
	v_add_f32_e32 v68, v66, v60
	v_sub_f32_e32 v60, v60, v66
	v_add_f32_e32 v100, v61, v59
	v_sub_f32_e32 v102, v59, v61
	v_dual_sub_f32 v59, v63, v59 :: v_dual_add_f32 v66, v64, v58
	v_dual_sub_f32 v58, v58, v64 :: v_dual_add_f32 v65, v65, v67
	v_sub_f32_e32 v79, v86, v87
	v_sub_f32_e32 v87, v69, v85
	v_dual_sub_f32 v69, v67, v69 :: v_dual_add_f32 v64, v82, v68
	v_dual_sub_f32 v86, v68, v82 :: v_dual_sub_f32 v61, v61, v63
	v_sub_f32_e32 v101, v58, v60
	v_dual_sub_f32 v82, v82, v66 :: v_dual_add_f32 v63, v63, v100
	v_sub_f32_e32 v96, v85, v67
	v_dual_sub_f32 v68, v66, v68 :: v_dual_add_f32 v85, v60, v58
	v_sub_f32_e32 v58, v62, v58
	v_sub_f32_e32 v60, v60, v62
	s_delay_alu instid0(VALU_DEP_3) | instskip(SKIP_3) | instid1(VALU_DEP_3)
	v_add_f32_e32 v62, v62, v85
	v_add_f32_e32 v85, v65, v57
	v_mul_f32_e32 v57, 0x3f4a47b2, v82
	v_mul_f32_e32 v67, 0x3d64c772, v68
	v_fmamk_f32 v65, v65, 0xbf955555, v85
	s_delay_alu instid0(VALU_DEP_3) | instskip(NEXT) | instid1(VALU_DEP_3)
	v_fma_f32 v57, 0xbf3bfb3b, v86, -v57
	v_fmamk_f32 v82, v82, 0x3f4a47b2, v67
	v_mul_f32_e32 v68, 0x3d64c772, v69
	v_mul_f32_e32 v69, 0x3f08b237, v101
	;; [unrolled: 1-line block ×4, first 2 shown]
	v_add_f32_e32 v64, v64, v66
	v_fma_f32 v67, 0x3f3bfb3b, v86, -v67
	v_fma_f32 v60, 0xbf5ff5aa, v60, -v69
	s_delay_alu instid0(VALU_DEP_3) | instskip(NEXT) | instid1(VALU_DEP_1)
	v_dual_fmamk_f32 v103, v59, 0xbeae86e6, v100 :: v_dual_add_f32 v56, v64, v56
	v_fmac_f32_e32 v103, 0xbee1c552, v63
	s_delay_alu instid0(VALU_DEP_2) | instskip(NEXT) | instid1(VALU_DEP_1)
	v_fmamk_f32 v64, v64, 0xbf955555, v56
	v_dual_add_f32 v67, v67, v64 :: v_dual_fmac_f32 v60, 0xbee1c552, v62
	v_dual_fmamk_f32 v86, v58, 0xbeae86e6, v69 :: v_dual_add_f32 v57, v57, v64
	v_dual_mul_f32 v102, 0xbf5ff5aa, v61 :: v_dual_add_f32 v69, v82, v64
	v_fma_f32 v61, 0xbf5ff5aa, v61, -v100
	s_delay_alu instid0(VALU_DEP_3) | instskip(SKIP_1) | instid1(VALU_DEP_4)
	v_fmac_f32_e32 v86, 0xbee1c552, v62
	v_mul_f32_e32 v66, 0x3f4a47b2, v96
	v_fma_f32 v59, 0x3eae86e6, v59, -v102
	v_fma_f32 v58, 0x3eae86e6, v58, -v101
	v_fmac_f32_e32 v61, 0xbee1c552, v63
	s_delay_alu instid0(VALU_DEP_4) | instskip(NEXT) | instid1(VALU_DEP_4)
	v_fma_f32 v66, 0xbf3bfb3b, v87, -v66
	v_fmac_f32_e32 v59, 0xbee1c552, v63
	v_fmamk_f32 v96, v96, 0x3f4a47b2, v68
	v_fma_f32 v68, 0x3f3bfb3b, v87, -v68
	v_fmac_f32_e32 v58, 0xbee1c552, v62
	s_delay_alu instid0(VALU_DEP_4) | instskip(NEXT) | instid1(VALU_DEP_3)
	v_dual_add_f32 v64, v66, v65 :: v_dual_add_f32 v63, v57, v59
	v_dual_sub_f32 v57, v57, v59 :: v_dual_add_f32 v68, v68, v65
	s_wait_loadcnt 0x15
	v_dual_add_f32 v82, v96, v65 :: v_dual_add_f32 v59, v54, v48
	v_dual_sub_f32 v48, v48, v54 :: v_dual_sub_f32 v65, v67, v61
	s_delay_alu instid0(VALU_DEP_3)
	v_add_f32_e32 v100, v60, v68
	v_dual_sub_f32 v101, v68, v60 :: v_dual_add_f32 v60, v55, v49
	v_sub_f32_e32 v49, v49, v55
	v_add_f32_e32 v55, v53, v47
	v_dual_sub_f32 v47, v47, v53 :: v_dual_sub_f32 v96, v64, v58
	v_dual_add_f32 v53, v51, v45 :: v_dual_add_f32 v102, v58, v64
	v_sub_f32_e32 v45, v45, v51
	s_delay_alu instid0(VALU_DEP_4) | instskip(SKIP_3) | instid1(VALU_DEP_4)
	v_add_f32_e32 v51, v60, v55
	v_add_f32_e32 v54, v52, v46
	v_sub_f32_e32 v46, v46, v52
	v_dual_add_f32 v62, v69, v103 :: v_dual_sub_f32 v87, v82, v86
	v_dual_add_f32 v51, v51, v53 :: v_dual_add_f32 v52, v50, v44
	v_sub_f32_e32 v44, v44, v50
	v_dual_sub_f32 v58, v69, v103 :: v_dual_add_f32 v103, v86, v82
	v_add_f32_e32 v68, v47, v45
	s_delay_alu instid0(VALU_DEP_4)
	v_add_f32_e32 v104, v51, v43
	v_sub_f32_e32 v82, v45, v47
	v_dual_sub_f32 v45, v49, v45 :: v_dual_add_f32 v50, v59, v54
	v_dual_sub_f32 v64, v54, v59 :: v_dual_sub_f32 v47, v47, v49
	v_sub_f32_e32 v69, v44, v46
	v_sub_f32_e32 v59, v59, v52
	v_sub_f32_e32 v66, v55, v60
	v_dual_sub_f32 v54, v52, v54 :: v_dual_sub_f32 v55, v53, v55
	v_dual_fmamk_f32 v51, v51, 0xbf955555, v104 :: v_dual_sub_f32 v60, v60, v53
	v_add_f32_e32 v61, v67, v61
	s_delay_alu instid0(VALU_DEP_3)
	v_dual_mul_f32 v53, 0x3d64c772, v54 :: v_dual_mul_f32 v54, 0x3d64c772, v55
	v_mul_f32_e32 v55, 0x3f08b237, v69
	v_mul_f32_e32 v69, 0xbf5ff5aa, v47
	v_add_f32_e32 v49, v49, v68
	v_add_f32_e32 v50, v50, v52
	;; [unrolled: 1-line block ×3, first 2 shown]
	v_dual_mul_f32 v43, 0x3f4a47b2, v59 :: v_dual_sub_f32 v44, v48, v44
	s_delay_alu instid0(VALU_DEP_3) | instskip(SKIP_1) | instid1(VALU_DEP_3)
	v_dual_fmamk_f32 v59, v59, 0x3f4a47b2, v53 :: v_dual_add_f32 v42, v50, v42
	v_fma_f32 v53, 0x3f3bfb3b, v64, -v53
	v_fma_f32 v43, 0xbf3bfb3b, v64, -v43
	s_delay_alu instid0(VALU_DEP_3) | instskip(SKIP_2) | instid1(VALU_DEP_3)
	v_fmamk_f32 v50, v50, 0xbf955555, v42
	v_sub_f32_e32 v46, v46, v48
	v_dual_add_f32 v48, v48, v67 :: v_dual_mul_f32 v67, 0x3f08b237, v82
	v_dual_mul_f32 v52, 0x3f4a47b2, v60 :: v_dual_add_f32 v43, v43, v50
	s_delay_alu instid0(VALU_DEP_3) | instskip(SKIP_1) | instid1(VALU_DEP_4)
	v_mul_f32_e32 v68, 0xbf5ff5aa, v46
	v_fma_f32 v46, 0xbf5ff5aa, v46, -v55
	v_fma_f32 v47, 0xbf5ff5aa, v47, -v67
	v_add_f32_e32 v53, v53, v50
	v_fma_f32 v52, 0xbf3bfb3b, v66, -v52
	s_delay_alu instid0(VALU_DEP_4) | instskip(SKIP_4) | instid1(VALU_DEP_2)
	v_fmac_f32_e32 v46, 0xbee1c552, v48
	v_fmamk_f32 v60, v60, 0x3f4a47b2, v54
	v_fmac_f32_e32 v47, 0xbee1c552, v49
	v_dual_fmamk_f32 v64, v44, 0xbeae86e6, v55 :: v_dual_add_f32 v55, v59, v50
	v_add_f32_e32 v50, v52, v51
	v_dual_add_f32 v59, v60, v51 :: v_dual_fmac_f32 v64, 0xbee1c552, v48
	s_delay_alu instid0(VALU_DEP_1)
	v_sub_f32_e32 v105, v59, v64
	v_fma_f32 v54, 0x3f3bfb3b, v66, -v54
	v_fmamk_f32 v66, v45, 0xbeae86e6, v67
	v_fma_f32 v45, 0x3eae86e6, v45, -v69
	v_add_nc_u32_e32 v69, 0xc00, v184
	v_add_nc_u32_e32 v67, 0x800, v184
	s_delay_alu instid0(VALU_DEP_4) | instskip(NEXT) | instid1(VALU_DEP_4)
	v_fmac_f32_e32 v66, 0xbee1c552, v49
	v_fmac_f32_e32 v45, 0xbee1c552, v49
	s_delay_alu instid0(VALU_DEP_1)
	v_add_f32_e32 v49, v43, v45
	v_fma_f32 v44, 0x3eae86e6, v44, -v68
	v_sub_f32_e32 v43, v43, v45
	s_wait_loadcnt 0xe
	v_dual_add_f32 v45, v40, v34 :: v_dual_sub_f32 v34, v34, v40
	v_add_f32_e32 v40, v38, v32
	v_fmac_f32_e32 v44, 0xbee1c552, v48
	v_add_f32_e32 v54, v54, v51
	v_sub_f32_e32 v32, v32, v38
	v_add_f32_e32 v38, v36, v30
	s_delay_alu instid0(VALU_DEP_4) | instskip(NEXT) | instid1(VALU_DEP_4)
	v_dual_sub_f32 v30, v30, v36 :: v_dual_add_f32 v113, v44, v50
	v_add_f32_e32 v107, v46, v54
	v_sub_f32_e32 v112, v54, v46
	v_dual_add_f32 v46, v41, v35 :: v_dual_sub_f32 v35, v35, v41
	v_add_f32_e32 v41, v39, v33
	v_sub_f32_e32 v33, v33, v39
	v_dual_add_f32 v39, v37, v31 :: v_dual_sub_f32 v106, v50, v44
	v_sub_f32_e32 v31, v31, v37
	v_sub_f32_e32 v51, v53, v47
	v_add_f32_e32 v47, v53, v47
	v_add_f32_e32 v114, v64, v59
	v_add_nc_u32_e32 v68, 0x1e00, v184
	v_dual_add_f32 v54, v33, v31 :: v_dual_sub_f32 v59, v31, v33
	v_sub_f32_e32 v31, v35, v31
	v_sub_f32_e32 v33, v33, v35
	s_delay_alu instid0(VALU_DEP_3)
	v_dual_add_f32 v36, v45, v40 :: v_dual_add_f32 v35, v35, v54
	v_add_f32_e32 v53, v32, v30
	v_dual_add_f32 v48, v55, v66 :: v_dual_add_f32 v37, v46, v41
	v_dual_sub_f32 v50, v40, v45 :: v_dual_sub_f32 v45, v45, v38
	v_sub_f32_e32 v40, v38, v40
	v_lshl_add_u32 v64, v111, 2, 0
	s_delay_alu instid0(VALU_DEP_4) | instskip(SKIP_1) | instid1(VALU_DEP_2)
	v_dual_add_f32 v37, v37, v39 :: v_dual_sub_f32 v44, v55, v66
	v_dual_sub_f32 v55, v30, v32 :: v_dual_sub_f32 v52, v41, v46
	v_dual_sub_f32 v46, v46, v39 :: v_dual_add_f32 v115, v37, v29
	v_dual_sub_f32 v30, v34, v30 :: v_dual_mul_f32 v29, 0x3f4a47b2, v45
	v_dual_sub_f32 v41, v39, v41 :: v_dual_sub_f32 v32, v32, v34
	s_delay_alu instid0(VALU_DEP_3) | instskip(NEXT) | instid1(VALU_DEP_1)
	v_dual_fmamk_f32 v37, v37, 0xbf955555, v115 :: v_dual_add_f32 v36, v36, v38
	v_add_f32_e32 v28, v36, v28
	s_delay_alu instid0(VALU_DEP_1)
	v_fmamk_f32 v36, v36, 0xbf955555, v28
	v_dual_add_f32 v34, v34, v53 :: v_dual_mul_f32 v53, 0x3f08b237, v59
	v_mul_f32_e32 v39, 0x3d64c772, v40
	v_fma_f32 v29, 0xbf3bfb3b, v50, -v29
	v_mul_f32_e32 v40, 0x3d64c772, v41
	v_mul_f32_e32 v41, 0x3f08b237, v55
	;; [unrolled: 1-line block ×3, first 2 shown]
	v_fmamk_f32 v45, v45, 0x3f4a47b2, v39
	v_add_f32_e32 v29, v29, v36
	v_fma_f32 v39, 0x3f3bfb3b, v50, -v39
	v_mul_f32_e32 v38, 0x3f4a47b2, v46
	v_fma_f32 v33, 0xbf5ff5aa, v33, -v53
	v_mul_f32_e32 v54, 0xbf5ff5aa, v32
	v_fma_f32 v32, 0xbf5ff5aa, v32, -v41
	v_add_f32_e32 v39, v39, v36
	v_fma_f32 v38, 0xbf3bfb3b, v52, -v38
	v_fmac_f32_e32 v33, 0xbee1c552, v35
	v_fmamk_f32 v46, v46, 0x3f4a47b2, v40
	v_fma_f32 v40, 0x3f3bfb3b, v52, -v40
	v_fmamk_f32 v52, v31, 0xbeae86e6, v53
	v_fma_f32 v31, 0x3eae86e6, v31, -v55
	s_delay_alu instid0(VALU_DEP_3) | instskip(SKIP_1) | instid1(VALU_DEP_3)
	v_add_f32_e32 v40, v40, v37
	v_fmamk_f32 v50, v30, 0xbeae86e6, v41
	v_fmac_f32_e32 v31, 0xbee1c552, v35
	v_fmac_f32_e32 v52, 0xbee1c552, v35
	s_delay_alu instid0(VALU_DEP_2)
	v_add_f32_e32 v35, v29, v31
	v_dual_add_f32 v41, v45, v36 :: v_dual_fmac_f32 v32, 0xbee1c552, v34
	v_add_f32_e32 v45, v46, v37
	v_add_f32_e32 v36, v38, v37
	v_sub_f32_e32 v37, v39, v33
	v_add_f32_e32 v33, v39, v33
	v_dual_add_f32 v119, v32, v40 :: v_dual_fmac_f32 v50, 0xbee1c552, v34
	v_sub_f32_e32 v29, v29, v31
	s_wait_loadcnt 0x7
	v_dual_add_f32 v31, v26, v20 :: v_dual_sub_f32 v20, v20, v26
	s_delay_alu instid0(VALU_DEP_3) | instskip(SKIP_1) | instid1(VALU_DEP_1)
	v_sub_f32_e32 v117, v45, v50
	v_fma_f32 v30, 0x3eae86e6, v30, -v54
	v_fmac_f32_e32 v30, 0xbee1c552, v34
	v_add_f32_e32 v34, v41, v52
	s_delay_alu instid0(VALU_DEP_2)
	v_add_f32_e32 v121, v30, v36
	v_sub_f32_e32 v120, v40, v32
	v_dual_add_f32 v32, v27, v21 :: v_dual_sub_f32 v21, v21, v27
	v_add_f32_e32 v27, v25, v19
	v_dual_sub_f32 v19, v19, v25 :: v_dual_sub_f32 v118, v36, v30
	v_dual_add_f32 v25, v23, v17 :: v_dual_sub_f32 v30, v41, v52
	v_sub_f32_e32 v17, v17, v23
	s_delay_alu instid0(VALU_DEP_4) | instskip(SKIP_3) | instid1(VALU_DEP_4)
	v_add_f32_e32 v23, v32, v27
	v_add_f32_e32 v26, v24, v18
	v_sub_f32_e32 v18, v18, v24
	v_add_f32_e32 v24, v22, v16
	v_dual_sub_f32 v16, v16, v22 :: v_dual_add_f32 v23, v23, v25
	v_add_f32_e32 v122, v50, v45
	v_dual_add_f32 v40, v19, v17 :: v_dual_sub_f32 v45, v17, v19
	v_dual_sub_f32 v36, v26, v31 :: v_dual_sub_f32 v19, v19, v21
	v_sub_f32_e32 v17, v21, v17
	v_add_f32_e32 v39, v18, v16
	v_dual_sub_f32 v41, v16, v18 :: v_dual_sub_f32 v18, v18, v20
	v_sub_f32_e32 v16, v20, v16
	s_delay_alu instid0(VALU_DEP_2) | instskip(NEXT) | instid1(VALU_DEP_3)
	v_dual_add_f32 v20, v20, v39 :: v_dual_mul_f32 v39, 0x3f08b237, v41
	v_mul_f32_e32 v41, 0xbf5ff5aa, v18
	v_dual_add_f32 v22, v31, v26 :: v_dual_add_f32 v21, v21, v40
	v_sub_f32_e32 v31, v31, v24
	v_dual_sub_f32 v38, v27, v32 :: v_dual_sub_f32 v27, v25, v27
	v_sub_f32_e32 v32, v32, v25
	s_delay_alu instid0(VALU_DEP_4) | instskip(SKIP_3) | instid1(VALU_DEP_4)
	v_add_f32_e32 v22, v22, v24
	v_mul_f32_e32 v40, 0x3f08b237, v45
	v_mul_f32_e32 v45, 0xbf5ff5aa, v19
	v_dual_mul_f32 v27, 0x3d64c772, v27 :: v_dual_sub_f32 v26, v24, v26
	v_dual_mul_f32 v25, 0x3f4a47b2, v32 :: v_dual_add_f32 v24, v22, v14
	v_add_f32_e32 v14, v23, v15
	v_mul_f32_e32 v15, 0x3f4a47b2, v31
	v_fma_f32 v18, 0xbf5ff5aa, v18, -v39
	s_delay_alu instid0(VALU_DEP_4) | instskip(NEXT) | instid1(VALU_DEP_3)
	v_fma_f32 v25, 0xbf3bfb3b, v38, -v25
	v_fma_f32 v15, 0xbf3bfb3b, v36, -v15
	v_fmamk_f32 v32, v32, 0x3f4a47b2, v27
	v_fma_f32 v27, 0x3f3bfb3b, v38, -v27
	v_fmamk_f32 v38, v17, 0xbeae86e6, v40
	v_fma_f32 v17, 0x3eae86e6, v17, -v45
	s_delay_alu instid0(VALU_DEP_1) | instskip(SKIP_1) | instid1(VALU_DEP_1)
	v_fmac_f32_e32 v17, 0xbee1c552, v21
	v_fmamk_f32 v23, v23, 0xbf955555, v14
	v_dual_add_f32 v27, v27, v23 :: v_dual_fmamk_f32 v22, v22, 0xbf955555, v24
	s_delay_alu instid0(VALU_DEP_1) | instskip(SKIP_1) | instid1(VALU_DEP_1)
	v_dual_add_f32 v15, v15, v22 :: v_dual_add_f32 v32, v32, v23
	v_mul_f32_e32 v26, 0x3d64c772, v26
	v_fmamk_f32 v31, v31, 0x3f4a47b2, v26
	v_fma_f32 v26, 0x3f3bfb3b, v36, -v26
	s_delay_alu instid0(VALU_DEP_2) | instskip(SKIP_1) | instid1(VALU_DEP_1)
	v_dual_fmac_f32 v18, 0xbee1c552, v20 :: v_dual_add_f32 v31, v31, v22
	v_fma_f32 v19, 0xbf5ff5aa, v19, -v40
	v_fmac_f32_e32 v19, 0xbee1c552, v21
	v_fmac_f32_e32 v38, 0xbee1c552, v21
	v_dual_add_f32 v21, v15, v17 :: v_dual_add_f32 v26, v26, v22
	v_dual_sub_f32 v15, v15, v17 :: v_dual_add_f32 v22, v25, v23
	s_delay_alu instid0(VALU_DEP_3) | instskip(SKIP_4) | instid1(VALU_DEP_3)
	v_dual_sub_f32 v17, v31, v38 :: v_dual_fmamk_f32 v36, v16, 0xbeae86e6, v39
	v_fma_f32 v16, 0x3eae86e6, v16, -v41
	s_wait_loadcnt 0x0
	v_add_f32_e32 v25, v13, v7
	v_dual_add_f32 v130, v18, v27 :: v_dual_sub_f32 v7, v7, v13
	v_dual_add_f32 v13, v11, v5 :: v_dual_fmac_f32 v16, 0xbee1c552, v20
	v_sub_f32_e32 v23, v26, v19
	v_dual_add_f32 v19, v26, v19 :: v_dual_sub_f32 v18, v27, v18
	v_sub_f32_e32 v5, v5, v11
	v_add_f32_e32 v11, v9, v3
	v_sub_f32_e32 v129, v22, v16
	v_fmac_f32_e32 v36, 0xbee1c552, v20
	v_dual_add_f32 v16, v16, v22 :: v_dual_sub_f32 v3, v3, v9
	v_dual_add_f32 v22, v12, v6 :: v_dual_add_f32 v9, v25, v13
	s_delay_alu instid0(VALU_DEP_3)
	v_dual_add_f32 v131, v36, v32 :: v_dual_add_f32 v20, v31, v38
	v_dual_sub_f32 v6, v6, v12 :: v_dual_sub_f32 v27, v13, v25
	v_dual_add_f32 v12, v10, v4 :: v_dual_sub_f32 v25, v25, v11
	v_dual_sub_f32 v4, v4, v10 :: v_dual_sub_f32 v13, v11, v13
	v_add_f32_e32 v10, v8, v2
	v_dual_sub_f32 v2, v2, v8 :: v_dual_add_f32 v9, v9, v11
	v_sub_f32_e32 v127, v32, v36
	v_add_f32_e32 v8, v22, v12
	v_sub_f32_e32 v26, v12, v22
	v_dual_add_f32 v32, v5, v3 :: v_dual_mul_f32 v11, 0x3f4a47b2, v25
	v_dual_sub_f32 v36, v2, v4 :: v_dual_mul_f32 v13, 0x3d64c772, v13
	v_sub_f32_e32 v38, v3, v5
	v_dual_sub_f32 v3, v7, v3 :: v_dual_sub_f32 v12, v10, v12
	v_dual_add_f32 v1, v9, v1 :: v_dual_sub_f32 v22, v22, v10
	v_add_f32_e32 v31, v4, v2
	v_sub_f32_e32 v2, v6, v2
	v_dual_sub_f32 v4, v4, v6 :: v_dual_fmamk_f32 v25, v25, 0x3f4a47b2, v13
	s_delay_alu instid0(VALU_DEP_4) | instskip(SKIP_3) | instid1(VALU_DEP_4)
	v_fmamk_f32 v9, v9, 0xbf955555, v1
	v_sub_f32_e32 v5, v5, v7
	v_dual_add_f32 v6, v6, v31 :: v_dual_add_f32 v7, v7, v32
	v_mul_f32_e32 v31, 0x3f08b237, v36
	v_dual_add_f32 v25, v25, v9 :: v_dual_mul_f32 v12, 0x3d64c772, v12
	v_mul_f32_e32 v32, 0x3f08b237, v38
	v_add_f32_e32 v8, v8, v10
	v_fma_f32 v13, 0x3f3bfb3b, v27, -v13
	v_fma_f32 v11, 0xbf3bfb3b, v27, -v11
	v_mul_f32_e32 v10, 0x3f4a47b2, v22
	v_fmamk_f32 v22, v22, 0x3f4a47b2, v12
	v_fma_f32 v12, 0x3f3bfb3b, v26, -v12
	v_dual_fmamk_f32 v27, v3, 0xbeae86e6, v32 :: v_dual_add_f32 v0, v8, v0
	v_add_f32_e32 v13, v13, v9
	v_dual_add_f32 v9, v11, v9 :: v_dual_mul_f32 v36, 0xbf5ff5aa, v4
	v_fma_f32 v10, 0xbf3bfb3b, v26, -v10
	v_fmamk_f32 v26, v2, 0xbeae86e6, v31
	v_fmac_f32_e32 v27, 0xbee1c552, v7
	v_fmamk_f32 v8, v8, 0xbf955555, v0
	v_fma_f32 v2, 0x3eae86e6, v2, -v36
	v_fma_f32 v4, 0xbf5ff5aa, v4, -v31
	v_fmac_f32_e32 v26, 0xbee1c552, v6
	s_delay_alu instid0(VALU_DEP_4) | instskip(NEXT) | instid1(VALU_DEP_4)
	v_add_f32_e32 v22, v22, v8
	v_fmac_f32_e32 v2, 0xbee1c552, v6
	s_delay_alu instid0(VALU_DEP_4) | instskip(NEXT) | instid1(VALU_DEP_2)
	v_fmac_f32_e32 v4, 0xbee1c552, v6
	v_dual_sub_f32 v11, v9, v2 :: v_dual_add_f32 v2, v2, v9
	s_delay_alu instid0(VALU_DEP_4)
	v_dual_sub_f32 v9, v22, v27 :: v_dual_add_f32 v12, v12, v8
	v_add_f32_e32 v8, v10, v8
	v_mul_f32_e32 v38, 0xbf5ff5aa, v5
	v_fma_f32 v5, 0xbf5ff5aa, v5, -v32
	v_add_f32_e32 v132, v4, v13
	v_sub_f32_e32 v4, v13, v4
	v_mad_i32_i24 v13, v183, 28, 0
	v_fma_f32 v3, 0x3eae86e6, v3, -v38
	v_fmac_f32_e32 v5, 0xbee1c552, v7
	s_delay_alu instid0(VALU_DEP_2) | instskip(NEXT) | instid1(VALU_DEP_2)
	v_fmac_f32_e32 v3, 0xbee1c552, v7
	v_dual_add_f32 v6, v22, v27 :: v_dual_sub_f32 v31, v12, v5
	v_add_f32_e32 v5, v12, v5
	v_add_f32_e32 v12, v26, v25
	s_delay_alu instid0(VALU_DEP_4)
	v_add_f32_e32 v10, v8, v3
	v_sub_f32_e32 v3, v8, v3
	v_mad_u32_u24 v8, v180, 28, 0
	ds_store_2addr_b32 v8, v80, v88 offset1:1
	ds_store_2addr_b32 v8, v91, v97 offset0:2 offset1:3
	ds_store_2addr_b32 v8, v98, v99 offset0:4 offset1:5
	ds_store_b32 v8, v116 offset:24
	v_mad_i32_i24 v116, v128, 28, 0
	ds_store_2addr_b32 v13, v70, v123 offset1:1
	ds_store_2addr_b32 v13, v124, v125 offset0:2 offset1:3
	ds_store_2addr_b32 v13, v126, v71 offset0:4 offset1:5
	ds_store_b32 v13, v72 offset:24
	v_mad_i32_i24 v123, v109, 28, 0
	;; [unrolled: 5-line block ×3, first 2 shown]
	v_mad_i32_i24 v125, v111, 28, 0
	v_mad_i32_i24 v65, v108, 28, 0
	ds_store_2addr_b32 v123, v42, v48 offset1:1
	ds_store_2addr_b32 v123, v49, v51 offset0:2 offset1:3
	ds_store_2addr_b32 v123, v47, v43 offset0:4 offset1:5
	ds_store_b32 v123, v44 offset:24
	ds_store_2addr_b32 v124, v28, v34 offset1:1
	ds_store_2addr_b32 v124, v35, v37 offset0:2 offset1:3
	ds_store_2addr_b32 v124, v33, v29 offset0:4 offset1:5
	ds_store_b32 v124, v30 offset:24
	;; [unrolled: 4-line block ×4, first 2 shown]
	v_and_b32_e32 v0, 0xff, v180
	v_and_b32_e32 v5, 0xff, v183
	global_wb scope:SCOPE_SE
	s_wait_dscnt 0x0
	s_barrier_signal -1
	s_barrier_wait -1
	v_mul_lo_u16 v0, v0, 37
	v_mul_lo_u16 v5, v5, 37
	global_inv scope:SCOPE_SE
	ds_load_2addr_b32 v[52:53], v185 offset0:87 offset1:136
	v_add_nc_u32_e32 v186, 0x1000, v184
	v_lshrrev_b16 v0, 8, v0
	v_lshrrev_b16 v5, 8, v5
	ds_load_2addr_b32 v[30:31], v189 offset0:43 offset1:92
	ds_load_2addr_b32 v[32:33], v67 offset0:125 offset1:174
	;; [unrolled: 1-line block ×3, first 2 shown]
	v_sub_nc_u16 v3, v180, v0
	v_add_nc_u32_e32 v190, 0xa00, v184
	v_add_nc_u32_e32 v66, 0x1c00, v184
	;; [unrolled: 1-line block ×4, first 2 shown]
	v_lshrrev_b16 v3, 1, v3
	v_lshl_add_u32 v62, v109, 2, 0
	v_lshl_add_u32 v63, v110, 2, 0
	v_sub_f32_e32 v7, v25, v26
	ds_load_2addr_b32 v[28:29], v187 offset0:179 offset1:228
	v_and_b32_e32 v3, 0x7f, v3
	ds_load_2addr_b32 v[22:23], v68 offset0:89 offset1:138
	ds_load_2addr_b32 v[48:49], v190 offset0:95 offset1:144
	;; [unrolled: 1-line block ×6, first 2 shown]
	v_add_nc_u16 v0, v3, v0
	v_sub_nc_u16 v3, v183, v5
	ds_load_2addr_b32 v[26:27], v66 offset0:21 offset1:70
	ds_load_2addr_b32 v[38:39], v69 offset0:65 offset1:114
	;; [unrolled: 1-line block ×4, first 2 shown]
	v_lshrrev_b16 v99, 2, v0
	v_lshrrev_b16 v0, 1, v3
	ds_load_2addr_b32 v[58:59], v67 offset0:27 offset1:76
	ds_load_2addr_b32 v[56:57], v186 offset0:201 offset1:250
	;; [unrolled: 1-line block ×6, first 2 shown]
	v_mul_lo_u16 v3, v99, 7
	v_and_b32_e32 v0, 0x7f, v0
	v_mad_i32_i24 v72, 0xffffffe8, v108, v65
	ds_load_b32 v98, v184
	ds_load_b32 v97, v188
	;; [unrolled: 1-line block ×7, first 2 shown]
	global_wb scope:SCOPE_SE
	s_wait_dscnt 0x0
	v_sub_nc_u16 v3, v180, v3
	v_add_nc_u16 v0, v0, v5
	s_barrier_signal -1
	s_barrier_wait -1
	global_inv scope:SCOPE_SE
	ds_store_2addr_b32 v8, v81, v89 offset1:1
	ds_store_2addr_b32 v8, v90, v92 offset0:2 offset1:3
	ds_store_2addr_b32 v8, v93, v94 offset0:4 offset1:5
	ds_store_b32 v8, v95 offset:24
	ds_store_2addr_b32 v13, v73, v74 offset1:1
	ds_store_2addr_b32 v13, v75, v78 offset0:2 offset1:3
	ds_store_2addr_b32 v13, v79, v83 offset0:4 offset1:5
	ds_store_b32 v13, v84 offset:24
	;; [unrolled: 4-line block ×3, first 2 shown]
	v_and_b32_e32 v100, 0xff, v3
	v_lshrrev_b16 v81, 2, v0
	ds_store_2addr_b32 v123, v104, v105 offset1:1
	ds_store_2addr_b32 v123, v106, v107 offset0:2 offset1:3
	ds_store_2addr_b32 v123, v112, v113 offset0:4 offset1:5
	ds_store_b32 v123, v114 offset:24
	ds_store_2addr_b32 v124, v115, v117 offset1:1
	ds_store_2addr_b32 v124, v118, v119 offset0:2 offset1:3
	ds_store_2addr_b32 v124, v120, v121 offset0:4 offset1:5
	ds_store_b32 v124, v122 offset:24
	;; [unrolled: 4-line block ×3, first 2 shown]
	v_mul_u32_u24_e32 v0, 6, v100
	v_mul_lo_u16 v3, v81, 7
	ds_store_2addr_b32 v65, v1, v7 offset1:1
	ds_store_2addr_b32 v65, v11, v132 offset0:2 offset1:3
	ds_store_2addr_b32 v65, v4, v2 offset0:4 offset1:5
	ds_store_b32 v65, v12 offset:24
	global_wb scope:SCOPE_SE
	s_wait_dscnt 0x0
	s_barrier_signal -1
	v_lshlrev_b32_e32 v103, 3, v0
	v_sub_nc_u16 v1, v183, v3
	s_barrier_wait -1
	global_inv scope:SCOPE_SE
	v_and_b32_e32 v75, 0xff, v110
	s_clause 0x1
	global_load_b128 v[12:15], v103, s[4:5]
	global_load_b128 v[8:11], v103, s[4:5] offset:16
	v_and_b32_e32 v83, 0xff, v1
	s_delay_alu instid0(VALU_DEP_1) | instskip(NEXT) | instid1(VALU_DEP_1)
	v_mul_u32_u24_e32 v0, 6, v83
	v_lshlrev_b32_e32 v104, 3, v0
	global_load_b128 v[0:3], v104, s[4:5]
	v_and_b32_e32 v79, 0xff, v128
	v_and_b32_e32 v78, 0xff, v109
	s_delay_alu instid0(VALU_DEP_2) | instskip(NEXT) | instid1(VALU_DEP_1)
	v_mul_lo_u16 v4, v79, 37
	v_lshrrev_b16 v4, 8, v4
	s_delay_alu instid0(VALU_DEP_1) | instskip(NEXT) | instid1(VALU_DEP_1)
	v_sub_nc_u16 v5, v128, v4
	v_lshrrev_b16 v5, 1, v5
	s_delay_alu instid0(VALU_DEP_1) | instskip(NEXT) | instid1(VALU_DEP_1)
	v_and_b32_e32 v5, 0x7f, v5
	v_add_nc_u16 v4, v5, v4
	v_mul_lo_u16 v5, v78, 37
	s_delay_alu instid0(VALU_DEP_2) | instskip(NEXT) | instid1(VALU_DEP_2)
	v_lshrrev_b16 v84, 2, v4
	v_lshrrev_b16 v16, 8, v5
	global_load_b128 v[4:7], v104, s[4:5] offset:16
	v_mul_lo_u16 v17, v84, 7
	v_sub_nc_u16 v18, v109, v16
	s_delay_alu instid0(VALU_DEP_2) | instskip(NEXT) | instid1(VALU_DEP_2)
	v_sub_nc_u16 v17, v128, v17
	v_lshrrev_b16 v18, 1, v18
	s_delay_alu instid0(VALU_DEP_2) | instskip(NEXT) | instid1(VALU_DEP_2)
	v_and_b32_e32 v85, 0xff, v17
	v_and_b32_e32 v17, 0x7f, v18
	s_delay_alu instid0(VALU_DEP_2) | instskip(NEXT) | instid1(VALU_DEP_2)
	v_mul_u32_u24_e32 v18, 6, v85
	v_add_nc_u16 v16, v17, v16
	v_mul_lo_u16 v17, v75, 37
	s_delay_alu instid0(VALU_DEP_3) | instskip(NEXT) | instid1(VALU_DEP_3)
	v_lshlrev_b32_e32 v105, 3, v18
	v_lshrrev_b16 v87, 2, v16
	s_delay_alu instid0(VALU_DEP_3)
	v_lshrrev_b16 v73, 8, v17
	s_clause 0x1
	global_load_b128 v[16:19], v105, s[4:5]
	global_load_b128 v[133:136], v105, s[4:5] offset:16
	v_mul_lo_u16 v74, v87, 7
	v_sub_nc_u16 v89, v110, v73
	s_delay_alu instid0(VALU_DEP_2) | instskip(NEXT) | instid1(VALU_DEP_2)
	v_sub_nc_u16 v90, v109, v74
	v_lshrrev_b16 v92, 1, v89
	v_and_b32_e32 v74, 0xffff, v111
	s_delay_alu instid0(VALU_DEP_3) | instskip(NEXT) | instid1(VALU_DEP_3)
	v_and_b32_e32 v89, 0xff, v90
	v_and_b32_e32 v90, 0x7f, v92
	s_delay_alu instid0(VALU_DEP_3) | instskip(NEXT) | instid1(VALU_DEP_3)
	v_mul_u32_u24_e32 v92, 0x2493, v74
	v_mul_u32_u24_e32 v93, 6, v89
	s_delay_alu instid0(VALU_DEP_3) | instskip(NEXT) | instid1(VALU_DEP_3)
	v_add_nc_u16 v73, v90, v73
	v_lshrrev_b32_e32 v92, 16, v92
	s_delay_alu instid0(VALU_DEP_3) | instskip(NEXT) | instid1(VALU_DEP_3)
	v_lshlrev_b32_e32 v107, 3, v93
	v_lshrrev_b16 v90, 2, v73
	s_delay_alu instid0(VALU_DEP_3)
	v_sub_nc_u16 v93, v111, v92
	v_and_b32_e32 v73, 0xffff, v108
	s_clause 0x1
	global_load_b128 v[137:140], v107, s[4:5]
	global_load_b128 v[141:144], v107, s[4:5] offset:16
	v_mul_lo_u16 v94, v90, 7
	v_lshrrev_b16 v93, 1, v93
	v_mul_u32_u24_e32 v95, 0x2493, v73
	s_delay_alu instid0(VALU_DEP_3) | instskip(NEXT) | instid1(VALU_DEP_3)
	v_sub_nc_u16 v94, v110, v94
	v_add_nc_u16 v92, v93, v92
	s_delay_alu instid0(VALU_DEP_2) | instskip(NEXT) | instid1(VALU_DEP_4)
	v_and_b32_e32 v93, 0xff, v94
	v_lshrrev_b32_e32 v94, 16, v95
	s_delay_alu instid0(VALU_DEP_3) | instskip(NEXT) | instid1(VALU_DEP_3)
	v_lshrrev_b16 v92, 2, v92
	v_mul_u32_u24_e32 v95, 6, v93
	s_delay_alu instid0(VALU_DEP_3) | instskip(NEXT) | instid1(VALU_DEP_3)
	v_sub_nc_u16 v96, v108, v94
	v_mul_lo_u16 v101, v92, 7
	s_delay_alu instid0(VALU_DEP_3) | instskip(NEXT) | instid1(VALU_DEP_3)
	v_lshlrev_b32_e32 v112, 3, v95
	v_lshrrev_b16 v95, 1, v96
	s_delay_alu instid0(VALU_DEP_3)
	v_sub_nc_u16 v96, v111, v101
	s_clause 0x1
	global_load_b128 v[145:148], v112, s[4:5]
	global_load_b128 v[193:196], v112, s[4:5] offset:16
	v_add_nc_u16 v95, v95, v94
	v_and_b32_e32 v94, 0xffff, v96
	s_delay_alu instid0(VALU_DEP_2) | instskip(NEXT) | instid1(VALU_DEP_2)
	v_lshrrev_b16 v95, 2, v95
	v_mul_u32_u24_e32 v96, 6, v94
	s_delay_alu instid0(VALU_DEP_2) | instskip(NEXT) | instid1(VALU_DEP_2)
	v_mul_lo_u16 v101, v95, 7
	v_lshlrev_b32_e32 v113, 3, v96
	s_delay_alu instid0(VALU_DEP_2) | instskip(SKIP_4) | instid1(VALU_DEP_1)
	v_sub_nc_u16 v96, v108, v101
	s_clause 0x1
	global_load_b128 v[197:200], v113, s[4:5]
	global_load_b128 v[201:204], v113, s[4:5] offset:16
	v_and_b32_e32 v96, 0xffff, v96
	v_mul_u32_u24_e32 v101, 6, v96
	s_delay_alu instid0(VALU_DEP_1)
	v_lshlrev_b32_e32 v114, 3, v101
	s_clause 0x1
	global_load_b128 v[205:208], v114, s[4:5]
	global_load_b128 v[209:212], v114, s[4:5] offset:16
	ds_load_2addr_b32 v[101:102], v185 offset0:87 offset1:136
	global_load_b128 v[213:216], v103, s[4:5] offset:32
	ds_load_2addr_b32 v[149:150], v67 offset0:125 offset1:174
	s_wait_loadcnt_dscnt 0xe01
	v_mul_f32_e32 v118, v101, v13
	v_mul_f32_e32 v13, v52, v13
	s_wait_dscnt 0x0
	v_mul_f32_e32 v119, v150, v15
	s_delay_alu instid0(VALU_DEP_3) | instskip(NEXT) | instid1(VALU_DEP_3)
	v_dual_mul_f32 v15, v33, v15 :: v_dual_fmac_f32 v118, v52, v12
	v_fma_f32 v124, v101, v12, -v13
	s_delay_alu instid0(VALU_DEP_3) | instskip(NEXT) | instid1(VALU_DEP_3)
	v_fmac_f32_e32 v119, v33, v14
	v_fma_f32 v127, v150, v14, -v15
	s_wait_loadcnt 0xc
	v_mul_f32_e32 v116, v102, v1
	v_mul_f32_e32 v1, v53, v1
	global_load_b128 v[217:220], v104, s[4:5] offset:32
	ds_load_2addr_b32 v[103:104], v186 offset0:5 offset1:54
	ds_load_2addr_b32 v[237:238], v189 offset0:43 offset1:92
	s_clause 0x1
	global_load_b128 v[225:228], v107, s[4:5] offset:32
	global_load_b128 v[233:236], v113, s[4:5] offset:32
	v_fmac_f32_e32 v116, v53, v0
	v_fma_f32 v121, v102, v0, -v1
	ds_load_2addr_b32 v[12:13], v67 offset0:27 offset1:76
	s_wait_dscnt 0x2
	v_mul_f32_e32 v122, v103, v9
	v_mul_f32_e32 v9, v46, v9
	s_wait_dscnt 0x1
	v_mul_f32_e32 v123, v238, v11
	s_delay_alu instid0(VALU_DEP_3) | instskip(NEXT) | instid1(VALU_DEP_3)
	v_dual_mul_f32 v11, v31, v11 :: v_dual_fmac_f32 v122, v46, v8
	v_fma_f32 v131, v103, v8, -v9
	ds_load_2addr_b32 v[8:9], v189 offset0:141 offset1:190
	v_fmac_f32_e32 v123, v31, v10
	v_fma_f32 v132, v238, v10, -v11
	ds_load_2addr_b32 v[10:11], v69 offset0:65 offset1:114
	s_wait_loadcnt 0xe
	v_mul_f32_e32 v125, v104, v5
	v_mul_f32_e32 v5, v47, v5
	global_load_b128 v[229:232], v112, s[4:5] offset:32
	v_fmac_f32_e32 v125, v47, v4
	v_fma_f32 v126, v104, v4, -v5
	v_mul_f32_e32 v4, v44, v7
	s_wait_dscnt 0x1
	v_mul_f32_e32 v129, v8, v7
	s_delay_alu instid0(VALU_DEP_2)
	v_fma_f32 v130, v8, v6, -v4
	ds_load_2addr_b32 v[4:5], v185 offset0:185 offset1:234
	s_wait_loadcnt 0xe
	v_mul_f32_e32 v8, v49, v19
	global_load_b128 v[221:224], v105, s[4:5] offset:32
	ds_load_2addr_b32 v[105:106], v190 offset0:95 offset1:144
	s_wait_dscnt 0x1
	v_mul_f32_e32 v112, v4, v17
	v_fmac_f32_e32 v129, v44, v6
	ds_load_2addr_b32 v[6:7], v186 offset0:103 offset1:152
	s_wait_dscnt 0x1
	v_dual_fmac_f32 v112, v42, v16 :: v_dual_mul_f32 v117, v105, v3
	v_mul_f32_e32 v3, v48, v3
	v_mul_f32_e32 v104, v106, v19
	v_mul_lo_u16 v75, 0x4f, v75
	s_delay_alu instid0(VALU_DEP_4) | instskip(NEXT) | instid1(VALU_DEP_4)
	v_fmac_f32_e32 v117, v48, v2
	v_fma_f32 v120, v105, v2, -v3
	global_load_b128 v[0:3], v114, s[4:5] offset:32
	v_fma_f32 v105, v106, v18, -v8
	v_mul_f32_e32 v8, v42, v17
	s_wait_loadcnt_dscnt 0xf00
	v_dual_mul_f32 v106, v9, v136 :: v_dual_mul_f32 v113, v6, v134
	s_wait_loadcnt 0xe
	v_dual_fmac_f32 v104, v49, v18 :: v_dual_mul_f32 v49, v10, v140
	v_fma_f32 v114, v4, v16, -v8
	s_delay_alu instid0(VALU_DEP_3) | instskip(SKIP_1) | instid1(VALU_DEP_4)
	v_dual_mul_f32 v4, v45, v136 :: v_dual_fmac_f32 v113, v40, v133
	v_fmac_f32_e32 v106, v45, v135
	v_fmac_f32_e32 v49, v38, v139
	v_lshrrev_b16 v75, 8, v75
	s_delay_alu instid0(VALU_DEP_4)
	v_fma_f32 v107, v9, v135, -v4
	ds_load_2addr_b32 v[8:9], v70 offset0:111 offset1:160
	v_mul_f32_e32 v4, v40, v134
	v_mul_f32_e32 v48, v5, v138
	ds_load_2addr_b32 v[135:136], v187 offset0:81 offset1:130
	v_mul_u32_u24_e32 v74, 0x4e5f, v74
	v_mul_u32_u24_e32 v73, 0x4e5f, v73
	v_fma_f32 v115, v6, v133, -v4
	v_mul_f32_e32 v4, v43, v138
	v_mul_f32_e32 v6, v38, v140
	ds_load_2addr_b32 v[133:134], v69 offset0:163 offset1:212
	s_wait_loadcnt 0xc
	v_mul_f32_e32 v40, v11, v148
	s_wait_dscnt 0x2
	v_dual_mul_f32 v103, v8, v144 :: v_dual_fmac_f32 v48, v43, v137
	v_mul_f32_e32 v43, v12, v146
	v_fma_f32 v53, v10, v139, -v6
	s_delay_alu instid0(VALU_DEP_3) | instskip(SKIP_1) | instid1(VALU_DEP_3)
	v_dual_mul_f32 v6, v41, v142 :: v_dual_fmac_f32 v103, v60, v143
	s_wait_loadcnt 0xb
	v_dual_mul_f32 v42, v9, v196 :: v_dual_fmac_f32 v43, v58, v145
	v_fma_f32 v102, v5, v137, -v4
	ds_load_2addr_b32 v[4:5], v186 offset0:201 offset1:250
	v_fma_f32 v101, v7, v141, -v6
	s_wait_loadcnt 0xa
	v_dual_mul_f32 v6, v60, v144 :: v_dual_mul_f32 v15, v13, v198
	s_wait_loadcnt_dscnt 0x902
	v_mul_f32_e32 v31, v135, v204
	v_mul_f32_e32 v52, v7, v142
	;; [unrolled: 1-line block ×3, first 2 shown]
	v_fma_f32 v60, v8, v143, -v6
	v_dual_mul_f32 v6, v58, v146 :: v_dual_fmac_f32 v15, v59, v197
	s_delay_alu instid0(VALU_DEP_4) | instskip(NEXT) | instid1(VALU_DEP_4)
	v_dual_fmac_f32 v31, v50, v203 :: v_dual_fmac_f32 v52, v41, v141
	v_fma_f32 v41, v11, v147, -v7
	v_mul_f32_e32 v7, v56, v194
	s_delay_alu instid0(VALU_DEP_4)
	v_fma_f32 v47, v12, v145, -v6
	v_mul_f32_e32 v6, v61, v196
	ds_load_2addr_b32 v[137:138], v66 offset0:21 offset1:70
	ds_load_2addr_b32 v[139:140], v191 offset0:157 offset1:206
	;; [unrolled: 1-line block ×3, first 2 shown]
	s_wait_loadcnt 0x7
	v_mul_f32_e32 v10, v136, v212
	s_wait_dscnt 0x3
	v_mul_f32_e32 v44, v4, v194
	v_fma_f32 v45, v9, v195, -v6
	v_mul_f32_e32 v6, v59, v198
	s_wait_loadcnt 0x6
	v_dual_mul_f32 v16, v5, v202 :: v_dual_mul_f32 v17, v23, v216
	v_fma_f32 v46, v4, v193, -v7
	v_mul_f32_e32 v9, v32, v206
	v_fma_f32 v33, v13, v197, -v6
	v_mul_f32_e32 v6, v57, v202
	v_fmac_f32_e32 v16, v57, v201
	ds_load_2addr_b32 v[57:58], v187 offset0:179 offset1:228
	v_mul_f32_e32 v4, v54, v200
	v_dual_fmac_f32 v40, v39, v147 :: v_dual_mul_f32 v7, v134, v208
	v_fma_f32 v19, v5, v201, -v6
	v_mul_f32_e32 v6, v50, v204
	s_delay_alu instid0(VALU_DEP_4)
	v_fma_f32 v38, v133, v199, -v4
	ds_load_2addr_b32 v[4:5], v68 offset0:89 offset1:138
	v_fmac_f32_e32 v7, v55, v207
	v_dual_fmac_f32 v42, v61, v195 :: v_dual_mul_f32 v13, v51, v212
	v_fma_f32 v39, v135, v203, -v6
	v_mul_f32_e32 v6, v55, v208
	v_mul_f32_e32 v18, v133, v200
	v_fmac_f32_e32 v44, v56, v193
	v_fma_f32 v13, v136, v211, -v13
	v_mul_f32_e32 v12, v30, v210
	v_fma_f32 v11, v149, v205, -v9
	v_mul_f32_e32 v9, v237, v210
	s_wait_dscnt 0x1
	v_mul_f32_e32 v133, v57, v214
	s_delay_alu instid0(VALU_DEP_2) | instskip(NEXT) | instid1(VALU_DEP_2)
	v_fmac_f32_e32 v9, v30, v209
	v_fmac_f32_e32 v133, v28, v213
	s_wait_dscnt 0x0
	v_fma_f32 v136, v5, v215, -v17
	s_wait_loadcnt 0x4
	v_mul_f32_e32 v50, v139, v228
	v_mul_f32_e32 v30, v138, v226
	s_wait_loadcnt 0x1
	s_delay_alu instid0(VALU_DEP_2)
	v_dual_fmac_f32 v50, v36, v227 :: v_dual_mul_f32 v17, v26, v222
	v_fma_f32 v14, v134, v207, -v6
	v_mul_f32_e32 v6, v28, v214
	v_mul_f32_e32 v134, v5, v216
	;; [unrolled: 1-line block ×3, first 2 shown]
	v_fma_f32 v56, v137, v221, -v17
	v_mul_f32_e32 v17, v36, v228
	v_fma_f32 v135, v57, v213, -v6
	v_mul_f32_e32 v57, v58, v218
	v_fmac_f32_e32 v18, v54, v199
	ds_load_2addr_b32 v[54:55], v191 offset0:59 offset1:108
	v_mul_f32_e32 v8, v149, v206
	v_fma_f32 v36, v139, v227, -v17
	v_dual_mul_f32 v17, v34, v230 :: v_dual_fmac_f32 v134, v23, v215
	v_mul_f32_e32 v23, v27, v226
	v_fmac_f32_e32 v10, v51, v211
	v_mul_f32_e32 v6, v29, v218
	v_fmac_f32_e32 v57, v29, v217
	v_fma_f32 v28, v141, v229, -v17
	v_fma_f32 v12, v237, v209, -v12
	s_wait_loadcnt 0x0
	v_mul_f32_e32 v17, v4, v1
	s_wait_dscnt 0x0
	v_dual_mul_f32 v51, v55, v224 :: v_dual_fmac_f32 v8, v32, v205
	v_fma_f32 v32, v138, v225, -v23
	v_mul_f32_e32 v23, v37, v232
	v_fma_f32 v61, v54, v219, -v5
	s_delay_alu instid0(VALU_DEP_4) | instskip(SKIP_4) | instid1(VALU_DEP_4)
	v_fmac_f32_e32 v51, v25, v223
	v_mul_f32_e32 v59, v54, v220
	v_fmac_f32_e32 v17, v22, v0
	v_fma_f32 v29, v140, v231, -v23
	v_mul_f32_e32 v23, v142, v234
	v_dual_fmac_f32 v59, v24, v219 :: v_dual_mul_f32 v24, v35, v234
	s_delay_alu instid0(VALU_DEP_2) | instskip(SKIP_2) | instid1(VALU_DEP_1)
	v_fmac_f32_e32 v23, v35, v233
	v_fma_f32 v58, v58, v217, -v6
	v_mul_f32_e32 v6, v25, v224
	v_fma_f32 v55, v55, v223, -v6
	ds_load_2addr_b32 v[5:6], v71 offset0:127 offset1:176
	v_dual_fmac_f32 v30, v27, v225 :: v_dual_mul_f32 v27, v140, v232
	s_delay_alu instid0(VALU_DEP_1) | instskip(SKIP_3) | instid1(VALU_DEP_1)
	v_fmac_f32_e32 v27, v37, v231
	v_sub_f32_e32 v37, v127, v135
	s_wait_dscnt 0x0
	v_mul_f32_e32 v25, v5, v236
	v_dual_mul_f32 v54, v137, v222 :: v_dual_fmac_f32 v25, v20, v235
	s_delay_alu instid0(VALU_DEP_1) | instskip(SKIP_1) | instid1(VALU_DEP_1)
	v_fmac_f32_e32 v54, v26, v221
	v_mul_f32_e32 v26, v141, v230
	v_fmac_f32_e32 v26, v34, v229
	v_mul_f32_e32 v34, v20, v236
	v_mul_f32_e32 v20, v22, v1
	s_delay_alu instid0(VALU_DEP_1) | instskip(SKIP_4) | instid1(VALU_DEP_3)
	v_fma_f32 v20, v4, v0, -v20
	v_and_b32_e32 v0, 0xffff, v99
	v_sub_f32_e32 v99, v132, v131
	v_add_f32_e32 v4, v122, v123
	v_fma_f32 v24, v142, v233, -v24
	v_sub_f32_e32 v139, v99, v37
	v_fma_f32 v1, v5, v235, -v34
	v_dual_add_f32 v5, v118, v134 :: v_dual_add_f32 v34, v119, v133
	s_delay_alu instid0(VALU_DEP_3) | instskip(NEXT) | instid1(VALU_DEP_2)
	v_dual_sub_f32 v138, v124, v136 :: v_dual_mul_f32 v139, 0x3f08b237, v139
	v_sub_f32_e32 v137, v5, v4
	s_delay_alu instid0(VALU_DEP_3) | instskip(SKIP_2) | instid1(VALU_DEP_4)
	v_add_f32_e32 v35, v34, v5
	v_mul_f32_e32 v22, v6, v3
	v_mul_f32_e32 v3, v21, v3
	;; [unrolled: 1-line block ×3, first 2 shown]
	s_delay_alu instid0(VALU_DEP_3) | instskip(NEXT) | instid1(VALU_DEP_3)
	v_dual_add_f32 v35, v4, v35 :: v_dual_fmac_f32 v22, v21, v2
	v_fma_f32 v137, v6, v2, -v3
	v_sub_f32_e32 v2, v37, v138
	v_add_f32_e32 v140, v99, v37
	s_delay_alu instid0(VALU_DEP_4)
	v_add_f32_e32 v98, v98, v35
	v_sub_f32_e32 v99, v138, v99
	v_sub_f32_e32 v3, v34, v5
	v_mul_f32_e32 v5, 0xbf5ff5aa, v2
	v_mul_u32_u24_e32 v0, 0xc4, v0
	v_fmamk_f32 v35, v35, 0xbf955555, v98
	v_dual_fmamk_f32 v143, v99, 0xbeae86e6, v139 :: v_dual_sub_f32 v4, v4, v34
	s_delay_alu instid0(VALU_DEP_4) | instskip(SKIP_1) | instid1(VALU_DEP_3)
	v_fma_f32 v5, 0x3eae86e6, v99, -v5
	v_sub_f32_e32 v99, v119, v133
	v_dual_sub_f32 v119, v123, v122 :: v_dual_fmamk_f32 v142, v4, 0x3d64c772, v141
	s_delay_alu instid0(VALU_DEP_1) | instskip(NEXT) | instid1(VALU_DEP_1)
	v_dual_mul_f32 v4, 0x3d64c772, v4 :: v_dual_sub_f32 v123, v119, v99
	v_fma_f32 v4, 0x3f3bfb3b, v3, -v4
	v_fma_f32 v3, 0xbf3bfb3b, v3, -v141
	v_lshlrev_b32_e32 v100, 2, v100
	s_delay_alu instid0(VALU_DEP_3) | instskip(NEXT) | instid1(VALU_DEP_2)
	v_add_f32_e32 v4, v4, v35
	v_add3_u32 v0, 0, v0, v100
	v_add_f32_e32 v100, v142, v35
	v_dual_add_f32 v35, v3, v35 :: v_dual_add_f32 v140, v140, v138
	ds_load_b32 v6, v184
	ds_load_b32 v142, v188
	;; [unrolled: 1-line block ×7, first 2 shown]
	global_wb scope:SCOPE_SE
	s_wait_dscnt 0x0
	s_barrier_signal -1
	s_barrier_wait -1
	v_fmac_f32_e32 v5, 0xbee1c552, v140
	v_fma_f32 v34, 0xbf5ff5aa, v2, -v139
	global_inv scope:SCOPE_SE
	v_dual_add_f32 v3, v5, v35 :: v_dual_fmac_f32 v34, 0xbee1c552, v140
	v_fmac_f32_e32 v143, 0xbee1c552, v140
	s_delay_alu instid0(VALU_DEP_2)
	v_sub_f32_e32 v37, v4, v34
	ds_store_2addr_b32 v0, v3, v37 offset0:14 offset1:21
	v_add_f32_e32 v37, v131, v132
	v_dual_add_f32 v2, v143, v100 :: v_dual_sub_f32 v3, v118, v134
	ds_store_2addr_b32 v0, v98, v2 offset1:7
	v_add_f32_e32 v2, v124, v136
	v_add_f32_e32 v98, v127, v135
	s_delay_alu instid0(VALU_DEP_1) | instskip(SKIP_2) | instid1(VALU_DEP_3)
	v_add_f32_e32 v118, v98, v2
	v_sub_f32_e32 v122, v98, v2
	v_sub_f32_e32 v98, v37, v98
	v_dual_sub_f32 v2, v2, v37 :: v_dual_add_f32 v37, v37, v118
	v_add_f32_e32 v118, v119, v99
	v_sub_f32_e32 v119, v3, v119
	v_sub_f32_e32 v99, v99, v3
	s_delay_alu instid0(VALU_DEP_3) | instskip(SKIP_3) | instid1(VALU_DEP_3)
	v_add_f32_e32 v3, v118, v3
	v_mul_f32_e32 v127, 0x3d64c772, v98
	v_mul_f32_e32 v124, 0x3f4a47b2, v2
	v_add_f32_e32 v2, v6, v37
	v_fma_f32 v118, 0x3f3bfb3b, v122, -v127
	s_delay_alu instid0(VALU_DEP_3) | instskip(SKIP_4) | instid1(VALU_DEP_4)
	v_fmamk_f32 v6, v98, 0x3d64c772, v124
	v_mul_f32_e32 v98, 0x3f08b237, v123
	v_mul_f32_e32 v123, 0xbf5ff5aa, v99
	v_fmamk_f32 v37, v37, 0xbf955555, v2
	v_fma_f32 v122, 0xbf3bfb3b, v122, -v124
	v_fma_f32 v99, 0xbf5ff5aa, v99, -v98
	v_fmamk_f32 v98, v119, 0xbeae86e6, v98
	v_fma_f32 v119, 0x3eae86e6, v119, -v123
	v_add_f32_e32 v123, v6, v37
	s_delay_alu instid0(VALU_DEP_4) | instskip(NEXT) | instid1(VALU_DEP_3)
	v_dual_add_f32 v6, v118, v37 :: v_dual_fmac_f32 v99, 0xbee1c552, v3
	v_dual_add_f32 v118, v122, v37 :: v_dual_fmac_f32 v119, 0xbee1c552, v3
	v_sub_f32_e32 v37, v35, v5
	v_sub_f32_e32 v35, v100, v143
	v_add_f32_e32 v100, v116, v59
	v_dual_sub_f32 v59, v116, v59 :: v_dual_add_f32 v116, v121, v61
	v_sub_f32_e32 v5, v118, v119
	v_dual_fmac_f32 v98, 0xbee1c552, v3 :: v_dual_sub_f32 v61, v121, v61
	v_dual_add_f32 v34, v34, v4 :: v_dual_add_f32 v3, v99, v6
	v_sub_f32_e32 v4, v6, v99
	v_dual_add_f32 v6, v119, v118 :: v_dual_add_f32 v119, v125, v129
	s_delay_alu instid0(VALU_DEP_4)
	v_dual_add_f32 v118, v117, v57 :: v_dual_sub_f32 v99, v123, v98
	v_dual_add_f32 v98, v98, v123 :: v_dual_sub_f32 v57, v117, v57
	v_add_f32_e32 v117, v120, v58
	v_sub_f32_e32 v58, v120, v58
	v_add_f32_e32 v121, v126, v130
	v_sub_f32_e32 v123, v130, v126
	;; [unrolled: 2-line block ×3, first 2 shown]
	v_sub_f32_e32 v124, v118, v100
	v_dual_sub_f32 v118, v119, v118 :: v_dual_sub_f32 v125, v117, v116
	v_dual_sub_f32 v100, v100, v119 :: v_dual_sub_f32 v127, v123, v58
	s_delay_alu instid0(VALU_DEP_4)
	v_dual_add_f32 v119, v119, v122 :: v_dual_add_f32 v126, v120, v57
	v_add_f32_e32 v122, v117, v116
	v_sub_f32_e32 v116, v116, v121
	v_sub_f32_e32 v117, v121, v117
	;; [unrolled: 1-line block ×3, first 2 shown]
	ds_store_2addr_b32 v0, v34, v37 offset0:28 offset1:35
	v_dual_add_f32 v121, v121, v122 :: v_dual_sub_f32 v122, v120, v57
	v_dual_sub_f32 v120, v59, v120 :: v_dual_sub_f32 v57, v57, v59
	v_dual_add_f32 v59, v126, v59 :: v_dual_add_f32 v126, v123, v58
	v_mul_f32_e32 v58, 0x3d64c772, v118
	v_dual_mul_f32 v100, 0x3f4a47b2, v100 :: v_dual_sub_f32 v123, v61, v123
	s_delay_alu instid0(VALU_DEP_3) | instskip(SKIP_1) | instid1(VALU_DEP_4)
	v_dual_mul_f32 v116, 0x3f4a47b2, v116 :: v_dual_add_f32 v61, v126, v61
	v_mul_f32_e32 v126, 0x3d64c772, v117
	v_fma_f32 v130, 0x3f3bfb3b, v124, -v58
	v_mul_f32_e32 v58, 0x3f08b237, v122
	s_delay_alu instid0(VALU_DEP_4)
	v_fmamk_f32 v117, v117, 0x3d64c772, v116
	v_fma_f32 v116, 0xbf3bfb3b, v125, -v116
	v_fma_f32 v122, 0x3f3bfb3b, v125, -v126
	v_fmamk_f32 v118, v118, 0x3d64c772, v100
	v_fma_f32 v125, 0xbf5ff5aa, v57, -v58
	v_fmamk_f32 v126, v120, 0xbeae86e6, v58
	v_add_f32_e32 v58, v97, v119
	v_mul_f32_e32 v97, 0x3f08b237, v127
	v_fma_f32 v100, 0xbf3bfb3b, v124, -v100
	v_fmac_f32_e32 v125, 0xbee1c552, v59
	ds_store_b32 v0, v35 offset:168
	v_fma_f32 v127, 0xbf5ff5aa, v129, -v97
	s_delay_alu instid0(VALU_DEP_1) | instskip(SKIP_1) | instid1(VALU_DEP_1)
	v_fmac_f32_e32 v127, 0xbee1c552, v61
	v_fmamk_f32 v119, v119, 0xbf955555, v58
	v_add_f32_e32 v100, v100, v119
	v_mul_f32_e32 v124, 0xbf5ff5aa, v57
	v_add_f32_e32 v57, v142, v121
	s_delay_alu instid0(VALU_DEP_2) | instskip(SKIP_2) | instid1(VALU_DEP_4)
	v_fma_f32 v124, 0x3eae86e6, v120, -v124
	v_mul_f32_e32 v120, 0xbf5ff5aa, v129
	v_fmamk_f32 v129, v123, 0xbeae86e6, v97
	v_fmamk_f32 v97, v121, 0xbf955555, v57
	s_delay_alu instid0(VALU_DEP_3) | instskip(NEXT) | instid1(VALU_DEP_3)
	v_fma_f32 v120, 0x3eae86e6, v123, -v120
	v_fmac_f32_e32 v129, 0xbee1c552, v61
	s_delay_alu instid0(VALU_DEP_3) | instskip(SKIP_3) | instid1(VALU_DEP_3)
	v_add_f32_e32 v117, v117, v97
	v_add_f32_e32 v122, v122, v97
	;; [unrolled: 1-line block ×3, first 2 shown]
	v_dual_add_f32 v116, v116, v97 :: v_dual_add_f32 v121, v130, v119
	v_dual_fmac_f32 v126, 0xbee1c552, v59 :: v_dual_sub_f32 v97, v122, v125
	v_fmac_f32_e32 v124, 0xbee1c552, v59
	s_delay_alu instid0(VALU_DEP_3) | instskip(SKIP_3) | instid1(VALU_DEP_4)
	v_dual_fmac_f32 v120, 0xbee1c552, v61 :: v_dual_sub_f32 v119, v121, v127
	v_add_f32_e32 v61, v127, v121
	v_add_f32_e32 v59, v125, v122
	;; [unrolled: 1-line block ×4, first 2 shown]
	v_sub_f32_e32 v120, v100, v120
	v_sub_f32_e32 v122, v118, v129
	v_dual_sub_f32 v118, v117, v126 :: v_dual_add_f32 v117, v126, v117
	v_sub_f32_e32 v100, v116, v124
	v_add_f32_e32 v116, v124, v116
	v_add_f32_e32 v124, v112, v51
	v_sub_f32_e32 v51, v112, v51
	v_add_f32_e32 v112, v114, v55
	v_dual_sub_f32 v55, v114, v55 :: v_dual_add_f32 v114, v104, v54
	v_sub_f32_e32 v54, v104, v54
	v_add_f32_e32 v104, v105, v56
	v_sub_f32_e32 v56, v105, v56
	v_dual_add_f32 v105, v113, v106 :: v_dual_sub_f32 v106, v106, v113
	v_add_f32_e32 v125, v114, v124
	v_add_f32_e32 v113, v115, v107
	v_sub_f32_e32 v107, v107, v115
	s_delay_alu instid0(VALU_DEP_4)
	v_dual_sub_f32 v115, v114, v124 :: v_dual_sub_f32 v124, v124, v105
	v_sub_f32_e32 v114, v105, v114
	v_add_f32_e32 v105, v105, v125
	v_add_f32_e32 v127, v106, v54
	;; [unrolled: 1-line block ×3, first 2 shown]
	v_sub_f32_e32 v126, v104, v112
	v_sub_f32_e32 v112, v112, v113
	;; [unrolled: 1-line block ×3, first 2 shown]
	s_delay_alu instid0(VALU_DEP_4)
	v_add_f32_e32 v113, v113, v125
	v_sub_f32_e32 v125, v106, v54
	v_sub_f32_e32 v106, v51, v106
	;; [unrolled: 1-line block ×3, first 2 shown]
	v_add_f32_e32 v51, v127, v51
	v_add_f32_e32 v127, v107, v56
	v_dual_sub_f32 v129, v107, v56 :: v_dual_sub_f32 v130, v56, v55
	v_mul_f32_e32 v56, 0x3d64c772, v114
	v_dual_mul_f32 v124, 0x3f4a47b2, v124 :: v_dual_sub_f32 v107, v55, v107
	s_delay_alu instid0(VALU_DEP_4) | instskip(NEXT) | instid1(VALU_DEP_3)
	v_dual_add_f32 v55, v127, v55 :: v_dual_mul_f32 v112, 0x3f4a47b2, v112
	v_fma_f32 v131, 0x3f3bfb3b, v115, -v56
	v_mul_f32_e32 v56, 0x3f08b237, v125
	v_mul_f32_e32 v125, 0xbf5ff5aa, v54
	;; [unrolled: 1-line block ×3, first 2 shown]
	v_fma_f32 v115, 0xbf3bfb3b, v115, -v124
	v_fmamk_f32 v104, v104, 0x3d64c772, v112
	v_fmamk_f32 v114, v114, 0x3d64c772, v124
	v_fma_f32 v112, 0xbf3bfb3b, v126, -v112
	v_fma_f32 v124, 0x3f3bfb3b, v126, -v127
	v_dual_fmamk_f32 v126, v106, 0xbeae86e6, v56 :: v_dual_add_f32 v127, v91, v105
	v_fma_f32 v54, 0xbf5ff5aa, v54, -v56
	v_mul_f32_e32 v91, 0x3f08b237, v129
	v_fma_f32 v106, 0x3eae86e6, v106, -v125
	v_dual_add_f32 v56, v144, v113 :: v_dual_mul_f32 v125, 0xbf5ff5aa, v130
	s_delay_alu instid0(VALU_DEP_4) | instskip(NEXT) | instid1(VALU_DEP_4)
	v_fmac_f32_e32 v54, 0xbee1c552, v51
	v_fma_f32 v129, 0xbf5ff5aa, v130, -v91
	v_fmamk_f32 v130, v107, 0xbeae86e6, v91
	s_delay_alu instid0(VALU_DEP_4) | instskip(SKIP_3) | instid1(VALU_DEP_3)
	v_fmamk_f32 v91, v113, 0xbf955555, v56
	v_fmamk_f32 v105, v105, 0xbf955555, v127
	v_fma_f32 v107, 0x3eae86e6, v107, -v125
	v_fmac_f32_e32 v126, 0xbee1c552, v51
	v_dual_fmac_f32 v106, 0xbee1c552, v51 :: v_dual_add_f32 v113, v114, v105
	v_add_f32_e32 v114, v131, v105
	v_add_f32_e32 v105, v115, v105
	;; [unrolled: 1-line block ×5, first 2 shown]
	v_fmac_f32_e32 v129, 0xbee1c552, v55
	v_fmac_f32_e32 v107, 0xbee1c552, v55
	s_delay_alu instid0(VALU_DEP_4) | instskip(NEXT) | instid1(VALU_DEP_3)
	v_dual_add_f32 v91, v54, v104 :: v_dual_fmac_f32 v130, 0xbee1c552, v55
	v_dual_sub_f32 v104, v104, v54 :: v_dual_sub_f32 v51, v114, v129
	s_delay_alu instid0(VALU_DEP_3)
	v_dual_add_f32 v55, v129, v114 :: v_dual_add_f32 v54, v107, v105
	v_dual_sub_f32 v114, v105, v107 :: v_dual_sub_f32 v105, v112, v106
	v_add_f32_e32 v106, v106, v112
	v_dual_sub_f32 v112, v115, v126 :: v_dual_add_f32 v107, v126, v115
	v_add_f32_e32 v115, v48, v50
	v_sub_f32_e32 v48, v48, v50
	v_add_f32_e32 v50, v102, v36
	v_sub_f32_e32 v36, v102, v36
	;; [unrolled: 2-line block ×3, first 2 shown]
	v_add_f32_e32 v49, v53, v32
	v_dual_sub_f32 v32, v53, v32 :: v_dual_add_f32 v53, v52, v103
	s_delay_alu instid0(VALU_DEP_4) | instskip(SKIP_2) | instid1(VALU_DEP_4)
	v_dual_add_f32 v125, v102, v115 :: v_dual_sub_f32 v52, v103, v52
	v_dual_add_f32 v103, v101, v60 :: v_dual_sub_f32 v60, v60, v101
	v_sub_f32_e32 v101, v102, v115
	v_dual_sub_f32 v115, v115, v53 :: v_dual_sub_f32 v102, v53, v102
	s_delay_alu instid0(VALU_DEP_4) | instskip(NEXT) | instid1(VALU_DEP_2)
	v_add_f32_e32 v53, v53, v125
	v_mul_f32_e32 v115, 0x3f4a47b2, v115
	v_dual_add_f32 v129, v52, v30 :: v_dual_add_f32 v124, v130, v113
	v_add_f32_e32 v125, v49, v50
	v_sub_f32_e32 v126, v49, v50
	v_sub_f32_e32 v50, v50, v103
	v_dual_add_f32 v88, v88, v53 :: v_dual_sub_f32 v113, v113, v130
	v_sub_f32_e32 v49, v103, v49
	v_add_f32_e32 v103, v103, v125
	v_sub_f32_e32 v125, v52, v30
	v_dual_mul_f32 v131, 0x3d64c772, v102 :: v_dual_sub_f32 v130, v60, v32
	v_dual_fmamk_f32 v53, v53, 0xbf955555, v88 :: v_dual_sub_f32 v30, v30, v48
	v_mul_f32_e32 v50, 0x3f4a47b2, v50
	v_sub_f32_e32 v52, v48, v52
	v_add_f32_e32 v48, v129, v48
	v_add_f32_e32 v129, v60, v32
	v_sub_f32_e32 v60, v36, v60
	v_fma_f32 v131, 0x3f3bfb3b, v101, -v131
	v_fma_f32 v101, 0xbf3bfb3b, v101, -v115
	v_sub_f32_e32 v32, v32, v36
	v_dual_add_f32 v36, v129, v36 :: v_dual_mul_f32 v129, 0x3d64c772, v49
	v_dual_fmamk_f32 v49, v49, 0x3d64c772, v50 :: v_dual_fmamk_f32 v102, v102, 0x3d64c772, v115
	v_mul_f32_e32 v115, 0x3f08b237, v125
	v_fma_f32 v50, 0xbf3bfb3b, v126, -v50
	s_delay_alu instid0(VALU_DEP_4)
	v_fma_f32 v125, 0x3f3bfb3b, v126, -v129
	v_mul_f32_e32 v129, 0x3f08b237, v130
	v_mul_f32_e32 v126, 0xbf5ff5aa, v30
	v_fma_f32 v30, 0xbf5ff5aa, v30, -v115
	v_fmamk_f32 v115, v52, 0xbeae86e6, v115
	v_mul_f32_e32 v130, 0xbf5ff5aa, v32
	v_fma_f32 v32, 0xbf5ff5aa, v32, -v129
	v_fma_f32 v52, 0x3eae86e6, v52, -v126
	v_add_f32_e32 v126, v145, v103
	s_delay_alu instid0(VALU_DEP_1) | instskip(SKIP_3) | instid1(VALU_DEP_4)
	v_fmamk_f32 v103, v103, 0xbf955555, v126
	v_fmamk_f32 v129, v60, 0xbeae86e6, v129
	v_fma_f32 v60, 0x3eae86e6, v60, -v130
	v_add_f32_e32 v130, v131, v53
	v_dual_fmac_f32 v30, 0xbee1c552, v48 :: v_dual_add_f32 v49, v49, v103
	v_add_f32_e32 v102, v102, v53
	v_add_f32_e32 v53, v101, v53
	;; [unrolled: 1-line block ×3, first 2 shown]
	v_dual_fmac_f32 v115, 0xbee1c552, v48 :: v_dual_add_f32 v50, v50, v103
	s_delay_alu instid0(VALU_DEP_2) | instskip(SKIP_3) | instid1(VALU_DEP_4)
	v_dual_fmac_f32 v52, 0xbee1c552, v48 :: v_dual_add_f32 v103, v30, v101
	v_fmac_f32_e32 v32, 0xbee1c552, v36
	v_fmac_f32_e32 v129, 0xbee1c552, v36
	;; [unrolled: 1-line block ×3, first 2 shown]
	v_sub_f32_e32 v125, v50, v52
	s_delay_alu instid0(VALU_DEP_4)
	v_sub_f32_e32 v36, v130, v32
	v_add_f32_e32 v32, v32, v130
	v_add_f32_e32 v130, v52, v50
	;; [unrolled: 1-line block ×3, first 2 shown]
	v_sub_f32_e32 v52, v102, v129
	v_dual_sub_f32 v102, v49, v115 :: v_dual_add_f32 v115, v115, v49
	v_add_f32_e32 v49, v43, v27
	v_sub_f32_e32 v27, v43, v27
	v_add_f32_e32 v43, v47, v29
	v_sub_f32_e32 v29, v47, v29
	;; [unrolled: 2-line block ×3, first 2 shown]
	v_add_f32_e32 v40, v41, v28
	v_dual_sub_f32 v28, v41, v28 :: v_dual_add_f32 v41, v44, v42
	v_dual_sub_f32 v101, v101, v30 :: v_dual_add_f32 v30, v60, v53
	v_sub_f32_e32 v48, v53, v60
	v_sub_f32_e32 v42, v42, v44
	v_add_f32_e32 v44, v46, v45
	v_add_f32_e32 v53, v47, v49
	v_dual_sub_f32 v45, v45, v46 :: v_dual_sub_f32 v46, v47, v49
	v_sub_f32_e32 v49, v49, v41
	v_sub_f32_e32 v47, v41, v47
	s_delay_alu instid0(VALU_DEP_4) | instskip(SKIP_4) | instid1(VALU_DEP_3)
	v_add_f32_e32 v41, v41, v53
	v_add_f32_e32 v53, v40, v43
	v_dual_sub_f32 v60, v40, v43 :: v_dual_sub_f32 v43, v43, v44
	v_add_f32_e32 v129, v42, v26
	v_dual_mul_f32 v49, 0x3f4a47b2, v49 :: v_dual_sub_f32 v40, v44, v40
	v_dual_add_f32 v44, v44, v53 :: v_dual_mul_f32 v43, 0x3f4a47b2, v43
	v_sub_f32_e32 v53, v42, v26
	v_sub_f32_e32 v26, v26, v27
	s_delay_alu instid0(VALU_DEP_4)
	v_dual_mul_f32 v132, 0x3d64c772, v47 :: v_dual_fmamk_f32 v47, v47, 0x3d64c772, v49
	v_dual_sub_f32 v42, v27, v42 :: v_dual_add_f32 v27, v129, v27
	v_add_f32_e32 v129, v45, v28
	v_sub_f32_e32 v131, v45, v28
	v_sub_f32_e32 v45, v29, v45
	v_fma_f32 v132, 0x3f3bfb3b, v46, -v132
	v_fma_f32 v46, 0xbf3bfb3b, v46, -v49
	v_mul_f32_e32 v49, 0x3f08b237, v53
	v_sub_f32_e32 v28, v28, v29
	v_add_f32_e32 v29, v129, v29
	v_dual_mul_f32 v129, 0x3d64c772, v40 :: v_dual_add_f32 v86, v86, v41
	s_delay_alu instid0(VALU_DEP_1) | instskip(SKIP_2) | instid1(VALU_DEP_1)
	v_fma_f32 v53, 0x3f3bfb3b, v60, -v129
	v_mul_f32_e32 v129, 0x3f08b237, v131
	v_add_f32_e32 v131, v146, v44
	v_dual_fmamk_f32 v41, v41, 0xbf955555, v86 :: v_dual_fmamk_f32 v44, v44, 0xbf955555, v131
	s_delay_alu instid0(VALU_DEP_1) | instskip(SKIP_3) | instid1(VALU_DEP_4)
	v_dual_fmamk_f32 v40, v40, 0x3d64c772, v43 :: v_dual_add_f32 v47, v47, v41
	v_fma_f32 v43, 0xbf3bfb3b, v60, -v43
	v_mul_f32_e32 v60, 0xbf5ff5aa, v26
	v_fma_f32 v26, 0xbf5ff5aa, v26, -v49
	v_dual_fmamk_f32 v49, v42, 0xbeae86e6, v49 :: v_dual_add_f32 v40, v40, v44
	s_delay_alu instid0(VALU_DEP_3) | instskip(NEXT) | instid1(VALU_DEP_3)
	v_fma_f32 v42, 0x3eae86e6, v42, -v60
	v_fmac_f32_e32 v26, 0xbee1c552, v27
	v_mul_f32_e32 v60, 0xbf5ff5aa, v28
	v_fma_f32 v28, 0xbf5ff5aa, v28, -v129
	v_fmamk_f32 v129, v45, 0xbeae86e6, v129
	v_add_f32_e32 v43, v43, v44
	v_fmac_f32_e32 v49, 0xbee1c552, v27
	v_fma_f32 v45, 0x3eae86e6, v45, -v60
	v_fmac_f32_e32 v28, 0xbee1c552, v29
	v_add_f32_e32 v60, v132, v41
	v_dual_add_f32 v41, v46, v41 :: v_dual_add_f32 v46, v53, v44
	v_dual_fmac_f32 v129, 0xbee1c552, v29 :: v_dual_fmac_f32 v42, 0xbee1c552, v27
	s_delay_alu instid0(VALU_DEP_3) | instskip(SKIP_1) | instid1(VALU_DEP_4)
	v_sub_f32_e32 v27, v60, v28
	v_dual_fmac_f32 v45, 0xbee1c552, v29 :: v_dual_add_f32 v28, v28, v60
	v_add_f32_e32 v132, v26, v46
	v_sub_f32_e32 v133, v46, v26
	v_sub_f32_e32 v134, v43, v42
	s_delay_alu instid0(VALU_DEP_4)
	v_dual_add_f32 v26, v45, v41 :: v_dual_add_f32 v135, v42, v43
	v_sub_f32_e32 v29, v41, v45
	v_dual_add_f32 v41, v129, v47 :: v_dual_sub_f32 v42, v47, v129
	v_dual_sub_f32 v129, v40, v49 :: v_dual_add_f32 v136, v49, v40
	v_add_f32_e32 v40, v15, v25
	v_sub_f32_e32 v15, v15, v25
	v_add_f32_e32 v25, v33, v1
	v_sub_f32_e32 v1, v33, v1
	;; [unrolled: 2-line block ×4, first 2 shown]
	s_delay_alu instid0(VALU_DEP_4) | instskip(SKIP_3) | instid1(VALU_DEP_4)
	v_dual_add_f32 v38, v16, v31 :: v_dual_add_f32 v43, v33, v40
	v_sub_f32_e32 v16, v31, v16
	v_add_f32_e32 v31, v19, v39
	v_sub_f32_e32 v19, v39, v19
	v_dual_sub_f32 v39, v33, v40 :: v_dual_sub_f32 v40, v40, v38
	v_sub_f32_e32 v33, v38, v33
	v_dual_add_f32 v38, v38, v43 :: v_dual_add_f32 v43, v23, v25
	v_dual_sub_f32 v44, v23, v25 :: v_dual_sub_f32 v25, v25, v31
	v_sub_f32_e32 v23, v31, v23
	v_add_f32_e32 v45, v16, v18
	s_delay_alu instid0(VALU_DEP_4) | instskip(SKIP_3) | instid1(VALU_DEP_3)
	v_dual_add_f32 v31, v31, v43 :: v_dual_mul_f32 v40, 0x3f4a47b2, v40
	v_dual_sub_f32 v43, v16, v18 :: v_dual_sub_f32 v46, v19, v24
	v_dual_mul_f32 v47, 0x3d64c772, v33 :: v_dual_sub_f32 v16, v15, v16
	v_sub_f32_e32 v18, v18, v15
	v_mul_f32_e32 v46, 0x3f08b237, v46
	s_delay_alu instid0(VALU_DEP_3)
	v_fma_f32 v47, 0x3f3bfb3b, v39, -v47
	v_fmamk_f32 v33, v33, 0x3d64c772, v40
	v_fma_f32 v39, 0xbf3bfb3b, v39, -v40
	v_mul_f32_e32 v40, 0x3f08b237, v43
	v_add_f32_e32 v15, v45, v15
	v_dual_add_f32 v45, v19, v24 :: v_dual_sub_f32 v24, v24, v1
	v_sub_f32_e32 v19, v1, v19
	s_delay_alu instid0(VALU_DEP_2) | instskip(SKIP_1) | instid1(VALU_DEP_1)
	v_add_f32_e32 v1, v45, v1
	v_mul_f32_e32 v45, 0x3d64c772, v23
	v_fma_f32 v43, 0x3f3bfb3b, v44, -v45
	v_add_f32_e32 v45, v82, v38
	s_delay_alu instid0(VALU_DEP_1) | instskip(SKIP_1) | instid1(VALU_DEP_1)
	v_fmamk_f32 v38, v38, 0xbf955555, v45
	v_mul_f32_e32 v25, 0x3f4a47b2, v25
	v_fmamk_f32 v23, v23, 0x3d64c772, v25
	v_fma_f32 v25, 0xbf3bfb3b, v44, -v25
	v_mul_f32_e32 v44, 0xbf5ff5aa, v18
	v_fma_f32 v18, 0xbf5ff5aa, v18, -v40
	v_fmamk_f32 v40, v16, 0xbeae86e6, v40
	v_add_f32_e32 v82, v138, v31
	s_delay_alu instid0(VALU_DEP_4) | instskip(SKIP_3) | instid1(VALU_DEP_3)
	v_fma_f32 v16, 0x3eae86e6, v16, -v44
	v_mul_f32_e32 v44, 0xbf5ff5aa, v24
	v_fma_f32 v24, 0xbf5ff5aa, v24, -v46
	v_fmamk_f32 v46, v19, 0xbeae86e6, v46
	v_fma_f32 v19, 0x3eae86e6, v19, -v44
	v_add_f32_e32 v44, v47, v38
	v_dual_add_f32 v33, v33, v38 :: v_dual_fmac_f32 v16, 0xbee1c552, v15
	v_fmamk_f32 v31, v31, 0xbf955555, v82
	v_add_f32_e32 v38, v39, v38
	v_fmac_f32_e32 v18, 0xbee1c552, v15
	v_dual_fmac_f32 v40, 0xbee1c552, v15 :: v_dual_fmac_f32 v19, 0xbee1c552, v1
	s_delay_alu instid0(VALU_DEP_4) | instskip(SKIP_1) | instid1(VALU_DEP_2)
	v_dual_add_f32 v25, v25, v31 :: v_dual_fmac_f32 v24, 0xbee1c552, v1
	v_fmac_f32_e32 v46, 0xbee1c552, v1
	v_dual_sub_f32 v140, v25, v16 :: v_dual_add_f32 v39, v43, v31
	s_delay_alu instid0(VALU_DEP_3) | instskip(NEXT) | instid1(VALU_DEP_3)
	v_add_f32_e32 v15, v24, v44
	v_dual_sub_f32 v1, v44, v24 :: v_dual_sub_f32 v24, v33, v46
	s_delay_alu instid0(VALU_DEP_3)
	v_add_f32_e32 v138, v18, v39
	v_add_f32_e32 v23, v23, v31
	;; [unrolled: 1-line block ×4, first 2 shown]
	v_sub_f32_e32 v139, v39, v18
	v_sub_f32_e32 v7, v7, v17
	v_dual_sub_f32 v142, v23, v40 :: v_dual_add_f32 v143, v40, v23
	v_add_f32_e32 v23, v8, v22
	v_sub_f32_e32 v8, v8, v22
	v_add_f32_e32 v22, v11, v137
	v_sub_f32_e32 v11, v11, v137
	;; [unrolled: 2-line block ×3, first 2 shown]
	v_dual_add_f32 v20, v9, v10 :: v_dual_sub_f32 v9, v10, v9
	v_add_f32_e32 v10, v12, v13
	v_sub_f32_e32 v12, v13, v12
	v_add_f32_e32 v31, v25, v23
	v_sub_f32_e32 v13, v25, v23
	v_sub_f32_e32 v23, v23, v20
	v_dual_sub_f32 v25, v20, v25 :: v_dual_add_f32 v18, v19, v38
	s_delay_alu instid0(VALU_DEP_4)
	v_dual_add_f32 v20, v20, v31 :: v_dual_add_f32 v31, v17, v22
	v_sub_f32_e32 v19, v38, v19
	v_dual_add_f32 v16, v46, v33 :: v_dual_sub_f32 v33, v17, v22
	v_sub_f32_e32 v22, v22, v10
	v_dual_sub_f32 v17, v10, v17 :: v_dual_add_f32 v38, v9, v7
	v_add_f32_e32 v10, v10, v31
	v_dual_sub_f32 v31, v9, v7 :: v_dual_mul_f32 v40, 0x3d64c772, v25
	s_delay_alu instid0(VALU_DEP_4) | instskip(NEXT) | instid1(VALU_DEP_3)
	v_dual_mul_f32 v22, 0x3f4a47b2, v22 :: v_dual_sub_f32 v7, v7, v8
	v_add_f32_e32 v137, v21, v10
	v_dual_sub_f32 v9, v8, v9 :: v_dual_add_f32 v8, v38, v8
	v_add_f32_e32 v38, v12, v14
	v_sub_f32_e32 v39, v12, v14
	v_dual_mul_f32 v23, 0x3f4a47b2, v23 :: v_dual_sub_f32 v12, v11, v12
	v_sub_f32_e32 v14, v14, v11
	s_delay_alu instid0(VALU_DEP_4) | instskip(SKIP_1) | instid1(VALU_DEP_4)
	v_dual_add_f32 v11, v38, v11 :: v_dual_mul_f32 v38, 0x3d64c772, v17
	v_fma_f32 v40, 0x3f3bfb3b, v13, -v40
	v_fma_f32 v13, 0xbf3bfb3b, v13, -v23
	v_fmamk_f32 v17, v17, 0x3d64c772, v22
	v_fma_f32 v22, 0xbf3bfb3b, v33, -v22
	v_fmamk_f32 v10, v10, 0xbf955555, v137
	v_fmamk_f32 v25, v25, 0x3d64c772, v23
	v_mul_f32_e32 v23, 0x3f08b237, v31
	v_fma_f32 v31, 0x3f3bfb3b, v33, -v38
	v_dual_add_f32 v38, v80, v20 :: v_dual_mul_f32 v21, 0xbf5ff5aa, v14
	s_delay_alu instid0(VALU_DEP_1) | instskip(NEXT) | instid1(VALU_DEP_1)
	v_fmamk_f32 v20, v20, 0xbf955555, v38
	v_add_f32_e32 v13, v13, v20
	v_mul_f32_e32 v39, 0x3f08b237, v39
	s_delay_alu instid0(VALU_DEP_1) | instskip(NEXT) | instid1(VALU_DEP_1)
	v_fma_f32 v14, 0xbf5ff5aa, v14, -v39
	v_fmac_f32_e32 v14, 0xbee1c552, v11
	v_mul_f32_e32 v33, 0xbf5ff5aa, v7
	v_fma_f32 v7, 0xbf5ff5aa, v7, -v23
	v_fmamk_f32 v23, v9, 0xbeae86e6, v23
	s_delay_alu instid0(VALU_DEP_3)
	v_fma_f32 v9, 0x3eae86e6, v9, -v33
	v_fmamk_f32 v33, v12, 0xbeae86e6, v39
	v_fma_f32 v12, 0x3eae86e6, v12, -v21
	v_add_f32_e32 v21, v25, v20
	v_fmac_f32_e32 v7, 0xbee1c552, v8
	v_fmac_f32_e32 v9, 0xbee1c552, v8
	;; [unrolled: 1-line block ×3, first 2 shown]
	v_dual_add_f32 v25, v40, v20 :: v_dual_add_f32 v20, v31, v10
	v_dual_fmac_f32 v12, 0xbee1c552, v11 :: v_dual_fmac_f32 v23, 0xbee1c552, v8
	s_delay_alu instid0(VALU_DEP_2) | instskip(SKIP_3) | instid1(VALU_DEP_4)
	v_dual_add_f32 v144, v7, v20 :: v_dual_add_f32 v17, v17, v10
	v_add_f32_e32 v10, v22, v10
	v_dual_sub_f32 v7, v20, v7 :: v_dual_and_b32 v22, 0xffff, v84
	v_sub_f32_e32 v20, v21, v33
	v_add_f32_e32 v84, v23, v17
	s_delay_alu instid0(VALU_DEP_4)
	v_sub_f32_e32 v145, v10, v9
	v_add_f32_e32 v9, v9, v10
	v_add_f32_e32 v10, v33, v21
	v_dual_sub_f32 v8, v25, v14 :: v_dual_add_f32 v11, v14, v25
	v_add_f32_e32 v14, v12, v13
	v_dual_sub_f32 v12, v13, v12 :: v_dual_and_b32 v13, 0xffff, v81
	v_lshlrev_b32_e32 v21, 2, v83
	v_sub_f32_e32 v83, v17, v23
	v_lshlrev_b32_e32 v17, 2, v85
	s_delay_alu instid0(VALU_DEP_4) | instskip(NEXT) | instid1(VALU_DEP_1)
	v_mul_u32_u24_e32 v13, 0xc4, v13
	v_add3_u32 v146, 0, v13, v21
	v_mul_u32_u24_e32 v13, 0xc4, v22
	v_and_b32_e32 v21, 0xffff, v87
	ds_store_2addr_b32 v146, v58, v123 offset1:7
	ds_store_2addr_b32 v146, v121, v119 offset0:14 offset1:21
	v_add3_u32 v85, 0, v13, v17
	v_mul_u32_u24_e32 v13, 0xc4, v21
	v_lshlrev_b32_e32 v17, 2, v89
	v_and_b32_e32 v21, 0xffff, v90
	ds_store_2addr_b32 v146, v61, v120 offset0:28 offset1:35
	ds_store_b32 v146, v122 offset:168
	ds_store_2addr_b32 v85, v127, v124 offset1:7
	ds_store_2addr_b32 v85, v54, v51 offset0:14 offset1:21
	v_add3_u32 v87, 0, v13, v17
	v_mul_u32_u24_e32 v13, 0xc4, v21
	v_lshlrev_b32_e32 v17, 2, v93
	v_and_b32_e32 v21, 0xffff, v92
	ds_store_2addr_b32 v85, v55, v114 offset0:28 offset1:35
	ds_store_b32 v85, v113 offset:168
	ds_store_2addr_b32 v87, v88, v50 offset1:7
	v_lshlrev_b32_e32 v22, 2, v96
	v_add3_u32 v88, 0, v13, v17
	v_and_b32_e32 v13, 0xffff, v95
	v_mul_u32_u24_e32 v17, 0xc4, v21
	v_lshlrev_b32_e32 v21, 2, v94
	ds_store_2addr_b32 v87, v30, v36 offset0:14 offset1:21
	ds_store_2addr_b32 v87, v32, v48 offset0:28 offset1:35
	ds_store_b32 v87, v52 offset:168
	ds_store_2addr_b32 v88, v86, v41 offset1:7
	v_mul_u32_u24_e32 v13, 0xc4, v13
	ds_store_2addr_b32 v88, v26, v27 offset0:14 offset1:21
	ds_store_2addr_b32 v88, v28, v29 offset0:28 offset1:35
	ds_store_b32 v88, v42 offset:168
	v_add3_u32 v86, 0, v17, v21
	v_add3_u32 v89, 0, v13, v22
	ds_store_2addr_b32 v86, v45, v16 offset1:7
	ds_store_2addr_b32 v86, v18, v1 offset0:14 offset1:21
	ds_store_2addr_b32 v86, v15, v19 offset0:28 offset1:35
	ds_store_b32 v86, v24 offset:168
	ds_store_2addr_b32 v89, v38, v10 offset1:7
	ds_store_2addr_b32 v89, v14, v8 offset0:14 offset1:21
	ds_store_2addr_b32 v89, v11, v12 offset0:28 offset1:35
	ds_store_b32 v89, v20 offset:168
	v_mul_lo_u16 v1, 0x4f, v79
	global_wb scope:SCOPE_SE
	s_wait_dscnt 0x0
	s_barrier_signal -1
	s_barrier_wait -1
	global_inv scope:SCOPE_SE
	ds_load_2addr_b32 v[52:53], v185 offset0:87 offset1:136
	ds_load_2addr_b32 v[18:19], v67 offset0:125 offset1:174
	;; [unrolled: 1-line block ×21, first 2 shown]
	ds_load_b32 v81, v184
	ds_load_b32 v80, v188
	ds_load_b32 v61, v192
	ds_load_b32 v60, v62
	ds_load_b32 v58, v63
	ds_load_b32 v55, v64
	ds_load_b32 v54, v72
	global_wb scope:SCOPE_SE
	s_wait_dscnt 0x0
	s_barrier_signal -1
	s_barrier_wait -1
	global_inv scope:SCOPE_SE
	ds_store_2addr_b32 v0, v2, v99 offset1:7
	ds_store_2addr_b32 v0, v5, v3 offset0:14 offset1:21
	ds_store_2addr_b32 v0, v4, v6 offset0:28 offset1:35
	ds_store_b32 v0, v98 offset:168
	ds_store_2addr_b32 v146, v57, v118 offset1:7
	ds_store_2addr_b32 v146, v100, v59 offset0:14 offset1:21
	ds_store_2addr_b32 v146, v97, v116 offset0:28 offset1:35
	ds_store_b32 v146, v117 offset:168
	;; [unrolled: 4-line block ×6, first 2 shown]
	ds_store_2addr_b32 v89, v137, v83 offset1:7
	v_mul_u32_u24_e32 v0, 6, v180
	v_lshrrev_b16 v1, 8, v1
	ds_store_2addr_b32 v89, v145, v144 offset0:14 offset1:21
	ds_store_2addr_b32 v89, v7, v9 offset0:28 offset1:35
	ds_store_b32 v89, v84 offset:168
	v_mul_lo_u16 v9, 0x4f, v78
	global_wb scope:SCOPE_SE
	s_wait_dscnt 0x0
	v_lshlrev_b32_e32 v56, 3, v0
	v_sub_nc_u16 v0, v128, v1
	s_barrier_signal -1
	v_lshrrev_b16 v59, 8, v9
	s_barrier_wait -1
	global_inv scope:SCOPE_SE
	v_lshrrev_b16 v0, 1, v0
	global_load_b128 v[4:7], v56, s[4:5] offset:336
	v_sub_nc_u16 v78, v109, v59
	v_and_b32_e32 v0, 0x7f, v0
	s_delay_alu instid0(VALU_DEP_2) | instskip(NEXT) | instid1(VALU_DEP_2)
	v_lshrrev_b16 v78, 1, v78
	v_add_nc_u16 v8, v0, v1
	global_load_b128 v[0:3], v56, s[4:5] offset:352
	v_and_b32_e32 v78, 0x7f, v78
	v_lshrrev_b16 v8, 5, v8
	s_delay_alu instid0(VALU_DEP_2) | instskip(NEXT) | instid1(VALU_DEP_2)
	v_add_nc_u16 v59, v78, v59
	v_mul_lo_u16 v57, v8, 49
	global_load_b128 v[8:11], v56, s[4:5] offset:368
	v_lshrrev_b16 v59, 5, v59
	v_sub_nc_u16 v57, v128, v57
	s_delay_alu instid0(VALU_DEP_2) | instskip(NEXT) | instid1(VALU_DEP_2)
	v_mul_lo_u16 v59, v59, 49
	v_and_b32_e32 v57, 0xff, v57
	s_delay_alu instid0(VALU_DEP_2) | instskip(NEXT) | instid1(VALU_DEP_2)
	v_sub_nc_u16 v59, v109, v59
	v_mul_u32_u24_e32 v79, 6, v57
	s_delay_alu instid0(VALU_DEP_1)
	v_lshlrev_b32_e32 v78, 3, v79
	v_sub_nc_u16 v79, v110, v75
	global_load_b128 v[82:85], v78, s[4:5] offset:336
	v_lshrrev_b16 v79, 1, v79
	v_and_b32_e32 v59, 0xff, v59
	s_clause 0x1
	global_load_b128 v[86:89], v78, s[4:5] offset:352
	global_load_b128 v[90:93], v78, s[4:5] offset:368
	v_and_b32_e32 v79, 0x7f, v79
	s_delay_alu instid0(VALU_DEP_1) | instskip(SKIP_1) | instid1(VALU_DEP_2)
	v_add_nc_u16 v75, v79, v75
	v_mul_u32_u24_e32 v79, 6, v59
	v_lshrrev_b16 v75, 5, v75
	s_delay_alu instid0(VALU_DEP_2) | instskip(SKIP_1) | instid1(VALU_DEP_3)
	v_lshlrev_b32_e32 v78, 3, v79
	v_lshrrev_b32_e32 v79, 16, v74
	v_mul_lo_u16 v75, v75, 49
	s_clause 0x2
	global_load_b128 v[94:97], v78, s[4:5] offset:336
	global_load_b128 v[98:101], v78, s[4:5] offset:352
	;; [unrolled: 1-line block ×3, first 2 shown]
	v_sub_nc_u16 v74, v110, v75
	v_sub_nc_u16 v75, v111, v79
	s_delay_alu instid0(VALU_DEP_2) | instskip(NEXT) | instid1(VALU_DEP_2)
	v_and_b32_e32 v74, 0xff, v74
	v_lshrrev_b16 v75, 1, v75
	s_delay_alu instid0(VALU_DEP_2) | instskip(NEXT) | instid1(VALU_DEP_2)
	v_mul_u32_u24_e32 v106, 6, v74
	v_add_nc_u16 v75, v75, v79
	v_lshrrev_b32_e32 v79, 16, v73
	s_delay_alu instid0(VALU_DEP_3) | instskip(NEXT) | instid1(VALU_DEP_3)
	v_lshlrev_b32_e32 v78, 3, v106
	v_lshrrev_b16 v75, 5, v75
	s_clause 0x1
	global_load_b128 v[112:115], v78, s[4:5] offset:336
	global_load_b128 v[116:119], v78, s[4:5] offset:352
	v_mul_lo_u16 v75, v75, 49
	global_load_b128 v[120:123], v78, s[4:5] offset:368
	v_sub_nc_u16 v73, v111, v75
	v_sub_nc_u16 v75, v108, v79
	s_delay_alu instid0(VALU_DEP_2) | instskip(NEXT) | instid1(VALU_DEP_2)
	v_and_b32_e32 v73, 0xffff, v73
	v_lshrrev_b16 v75, 1, v75
	s_delay_alu instid0(VALU_DEP_2) | instskip(NEXT) | instid1(VALU_DEP_2)
	v_mul_u32_u24_e32 v106, 6, v73
	v_add_nc_u16 v75, v75, v79
	s_delay_alu instid0(VALU_DEP_2) | instskip(NEXT) | instid1(VALU_DEP_2)
	v_lshlrev_b32_e32 v78, 3, v106
	v_lshrrev_b16 v75, 5, v75
	s_clause 0x1
	global_load_b128 v[124:127], v78, s[4:5] offset:336
	global_load_b128 v[129:132], v78, s[4:5] offset:352
	v_mul_lo_u16 v75, v75, 49
	global_load_b128 v[133:136], v78, s[4:5] offset:368
	v_sub_nc_u16 v75, v108, v75
	s_delay_alu instid0(VALU_DEP_1) | instskip(NEXT) | instid1(VALU_DEP_1)
	v_and_b32_e32 v75, 0xffff, v75
	v_mul_u32_u24_e32 v79, 6, v75
	s_delay_alu instid0(VALU_DEP_1)
	v_lshlrev_b32_e32 v78, 3, v79
	s_clause 0x2
	global_load_b128 v[137:140], v78, s[4:5] offset:336
	global_load_b128 v[141:144], v78, s[4:5] offset:352
	;; [unrolled: 1-line block ×3, first 2 shown]
	ds_load_2addr_b32 v[78:79], v185 offset0:87 offset1:136
	ds_load_2addr_b32 v[106:107], v67 offset0:125 offset1:174
	;; [unrolled: 1-line block ×10, first 2 shown]
	s_wait_loadcnt_dscnt 0x1109
	v_mul_f32_e32 v151, v78, v5
	s_wait_dscnt 0x8
	v_dual_mul_f32 v207, v52, v5 :: v_dual_mul_f32 v208, v107, v7
	v_mul_f32_e32 v209, v79, v5
	v_mul_f32_e32 v5, v53, v5
	v_dual_fmac_f32 v151, v52, v4 :: v_dual_mul_f32 v52, v19, v7
	s_delay_alu instid0(VALU_DEP_3) | instskip(NEXT) | instid1(VALU_DEP_3)
	v_dual_fmac_f32 v208, v19, v6 :: v_dual_fmac_f32 v209, v53, v4
	v_fma_f32 v79, v79, v4, -v5
	s_wait_loadcnt_dscnt 0x1006
	v_mul_f32_e32 v53, v193, v1
	v_fma_f32 v19, v107, v6, -v52
	v_mul_f32_e32 v52, v149, v7
	v_mul_f32_e32 v7, v46, v7
	;; [unrolled: 1-line block ×3, first 2 shown]
	v_fmac_f32_e32 v53, v50, v0
	s_delay_alu instid0(VALU_DEP_4) | instskip(NEXT) | instid1(VALU_DEP_4)
	v_fmac_f32_e32 v52, v46, v6
	v_fma_f32 v46, v149, v6, -v7
	v_mul_f32_e32 v149, v194, v1
	v_mul_f32_e32 v1, v51, v1
	v_fma_f32 v50, v193, v0, -v107
	s_wait_dscnt 0x5
	v_mul_f32_e32 v107, v196, v3
	v_dual_mul_f32 v6, v17, v3 :: v_dual_fmac_f32 v149, v51, v0
	s_wait_loadcnt_dscnt 0xf04
	v_mul_f32_e32 v51, v197, v9
	v_fma_f32 v193, v194, v0, -v1
	s_wait_dscnt 0x2
	v_mul_f32_e32 v194, v201, v3
	v_dual_mul_f32 v0, v44, v3 :: v_dual_fmac_f32 v107, v17, v2
	v_fma_f32 v196, v196, v2, -v6
	v_fmac_f32_e32 v51, v48, v8
	s_delay_alu instid0(VALU_DEP_4)
	v_fmac_f32_e32 v194, v44, v2
	v_mul_f32_e32 v1, v48, v9
	v_fma_f32 v48, v201, v2, -v0
	v_mul_f32_e32 v2, v42, v11
	v_fma_f32 v78, v78, v4, -v207
	ds_load_2addr_b32 v[4:5], v186 offset0:103 offset1:152
	v_mul_f32_e32 v44, v198, v9
	v_mul_f32_e32 v0, v49, v9
	v_fma_f32 v197, v197, v8, -v1
	v_mul_f32_e32 v1, v13, v11
	s_delay_alu instid0(VALU_DEP_4) | instskip(NEXT) | instid1(VALU_DEP_4)
	v_dual_mul_f32 v201, v200, v11 :: v_dual_fmac_f32 v44, v49, v8
	v_fma_f32 v49, v198, v8, -v0
	s_wait_dscnt 0x2
	v_mul_f32_e32 v198, v203, v11
	v_fma_f32 v200, v200, v10, -v1
	ds_load_2addr_b32 v[0:1], v66 offset0:21 offset1:70
	s_wait_loadcnt 0xe
	v_mul_f32_e32 v207, v150, v85
	v_dual_mul_f32 v3, v47, v85 :: v_dual_fmac_f32 v198, v42, v10
	s_wait_dscnt 0x2
	v_mul_f32_e32 v42, v205, v83
	v_fma_f32 v85, v203, v10, -v2
	v_dual_fmac_f32 v207, v47, v84 :: v_dual_mul_f32 v6, v40, v83
	v_fma_f32 v47, v150, v84, -v3
	s_wait_loadcnt 0xd
	v_mul_f32_e32 v83, v202, v89
	v_mul_f32_e32 v7, v45, v89
	ds_load_2addr_b32 v[2:3], v69 offset0:65 offset1:114
	v_fmac_f32_e32 v42, v40, v82
	s_wait_dscnt 0x2
	v_mul_f32_e32 v40, v4, v87
	v_fma_f32 v82, v205, v82, -v6
	v_dual_mul_f32 v8, v38, v87 :: v_dual_fmac_f32 v83, v45, v88
	v_fma_f32 v45, v202, v88, -v7
	ds_load_2addr_b32 v[6:7], v70 offset0:111 offset1:160
	v_fmac_f32_e32 v40, v38, v86
	s_wait_loadcnt 0xc
	v_mul_f32_e32 v84, v204, v93
	v_fma_f32 v86, v4, v86, -v8
	v_mul_f32_e32 v4, v36, v91
	ds_load_2addr_b32 v[8:9], v191 offset0:157 offset1:206
	v_dual_fmac_f32 v201, v13, v10 :: v_dual_fmac_f32 v84, v43, v92
	s_wait_loadcnt 0xb
	v_dual_mul_f32 v10, v43, v93 :: v_dual_mul_f32 v43, v206, v95
	s_wait_dscnt 0x3
	v_fma_f32 v88, v0, v90, -v4
	v_dual_mul_f32 v4, v34, v97 :: v_dual_mul_f32 v87, v0, v91
	v_mul_f32_e32 v0, v41, v95
	v_fma_f32 v89, v204, v92, -v10
	v_fmac_f32_e32 v43, v41, v94
	s_wait_dscnt 0x2
	v_mul_f32_e32 v41, v2, v97
	v_fma_f32 v92, v2, v96, -v4
	s_wait_loadcnt 0xa
	v_dual_mul_f32 v2, v32, v101 :: v_dual_mul_f32 v91, v5, v99
	s_wait_dscnt 0x1
	v_mul_f32_e32 v93, v6, v101
	ds_load_2addr_b32 v[10:11], v67 offset0:27 offset1:76
	v_fma_f32 v95, v6, v100, -v2
	s_wait_loadcnt 0x9
	v_mul_f32_e32 v2, v30, v105
	s_wait_loadcnt 0x8
	v_dual_mul_f32 v6, v35, v115 :: v_dual_fmac_f32 v93, v32, v100
	v_mul_f32_e32 v97, v3, v115
	v_fmac_f32_e32 v91, v39, v98
	s_wait_dscnt 0x1
	v_fma_f32 v100, v8, v104, -v2
	v_fma_f32 v101, v3, v114, -v6
	ds_load_2addr_b32 v[2:3], v69 offset0:163 offset1:212
	v_fmac_f32_e32 v87, v36, v90
	v_fma_f32 v90, v206, v94, -v0
	v_dual_mul_f32 v0, v39, v99 :: v_dual_mul_f32 v13, v28, v113
	v_mul_f32_e32 v94, v1, v103
	s_wait_loadcnt 0x7
	v_dual_mul_f32 v6, v33, v119 :: v_dual_fmac_f32 v97, v35, v114
	s_delay_alu instid0(VALU_DEP_3) | instskip(SKIP_4) | instid1(VALU_DEP_2)
	v_fma_f32 v39, v5, v98, -v0
	ds_load_2addr_b32 v[4:5], v186 offset0:201 offset1:250
	s_wait_dscnt 0x2
	v_dual_mul_f32 v99, v10, v113 :: v_dual_mul_f32 v0, v37, v103
	v_dual_fmac_f32 v94, v37, v102 :: v_dual_mul_f32 v103, v7, v119
	v_fma_f32 v98, v1, v102, -v0
	ds_load_2addr_b32 v[0:1], v66 offset0:119 offset1:168
	s_wait_loadcnt_dscnt 0x502
	v_dual_mul_f32 v35, v11, v125 :: v_dual_mul_f32 v38, v2, v127
	s_delay_alu instid0(VALU_DEP_1) | instskip(SKIP_4) | instid1(VALU_DEP_3)
	v_fmac_f32_e32 v38, v22, v126
	s_wait_loadcnt_dscnt 0x401
	v_dual_mul_f32 v36, v5, v130 :: v_dual_fmac_f32 v41, v34, v96
	v_mul_f32_e32 v96, v8, v105
	v_dual_mul_f32 v8, v26, v117 :: v_dual_mul_f32 v105, v9, v123
	v_fmac_f32_e32 v36, v27, v129
	s_delay_alu instid0(VALU_DEP_3) | instskip(SKIP_1) | instid1(VALU_DEP_4)
	v_fmac_f32_e32 v96, v30, v104
	v_mul_f32_e32 v104, v4, v117
	v_fma_f32 v113, v4, v116, -v8
	v_fmac_f32_e32 v105, v31, v122
	v_mul_f32_e32 v4, v31, v123
	ds_load_2addr_b32 v[30:31], v71 offset0:127 offset1:176
	v_mul_f32_e32 v8, v24, v121
	v_fmac_f32_e32 v104, v26, v116
	s_wait_dscnt 0x1
	v_mul_f32_e32 v114, v0, v121
	v_fma_f32 v115, v9, v122, -v4
	v_mul_f32_e32 v4, v29, v125
	v_fma_f32 v116, v0, v120, -v8
	s_wait_loadcnt 0x3
	v_dual_mul_f32 v0, v22, v127 :: v_dual_mul_f32 v121, v1, v134
	v_fmac_f32_e32 v114, v24, v120
	v_fma_f32 v117, v11, v124, -v4
	s_wait_loadcnt 0x2
	v_mul_f32_e32 v11, v106, v138
	v_fma_f32 v119, v2, v126, -v0
	v_mul_f32_e32 v0, v20, v132
	v_mul_f32_e32 v4, v27, v130
	s_delay_alu instid0(VALU_DEP_4) | instskip(SKIP_2) | instid1(VALU_DEP_3)
	v_dual_mul_f32 v2, v25, v134 :: v_dual_fmac_f32 v11, v18, v137
	s_wait_loadcnt 0x1
	v_dual_mul_f32 v9, v195, v142 :: v_dual_sub_f32 v8, v208, v51
	v_fma_f32 v120, v5, v129, -v4
	s_wait_dscnt 0x0
	v_mul_f32_e32 v122, v30, v136
	v_fmac_f32_e32 v99, v28, v112
	v_fma_f32 v102, v10, v112, -v13
	v_fma_f32 v112, v7, v118, -v6
	ds_load_2addr_b32 v[6:7], v187 offset0:81 offset1:130
	v_fmac_f32_e32 v122, v14, v135
	v_mul_f32_e32 v4, v14, v136
	v_mul_f32_e32 v10, v3, v140
	v_fmac_f32_e32 v35, v29, v124
	v_fma_f32 v124, v1, v133, -v2
	s_wait_loadcnt 0x0
	v_dual_mul_f32 v1, v23, v140 :: v_dual_mul_f32 v2, v12, v146
	v_add_f32_e32 v14, v53, v107
	v_fma_f32 v125, v30, v135, -v4
	v_fmac_f32_e32 v10, v23, v139
	s_delay_alu instid0(VALU_DEP_4)
	v_fma_f32 v13, v3, v139, -v1
	v_mul_f32_e32 v1, v21, v144
	v_sub_f32_e32 v4, v78, v200
	s_wait_dscnt 0x0
	v_fma_f32 v123, v6, v131, -v0
	v_mul_f32_e32 v0, v18, v138
	v_dual_fmac_f32 v103, v33, v118 :: v_dual_mul_f32 v118, v6, v132
	v_add_f32_e32 v6, v19, v197
	v_fma_f32 v24, v7, v143, -v1
	s_delay_alu instid0(VALU_DEP_4) | instskip(SKIP_3) | instid1(VALU_DEP_3)
	v_fma_f32 v18, v106, v137, -v0
	v_mul_f32_e32 v0, v16, v142
	v_fmac_f32_e32 v118, v20, v131
	v_sub_f32_e32 v20, v196, v50
	v_fma_f32 v22, v195, v141, -v0
	v_dual_mul_f32 v0, v15, v148 :: v_dual_fmac_f32 v121, v25, v133
	v_fma_f32 v25, v199, v145, -v2
	v_add_f32_e32 v2, v78, v200
	v_mul_f32_e32 v17, v7, v144
	s_delay_alu instid0(VALU_DEP_4) | instskip(SKIP_4) | instid1(VALU_DEP_3)
	v_fma_f32 v33, v31, v147, -v0
	v_add_f32_e32 v0, v151, v201
	v_mul_f32_e32 v29, v31, v148
	v_dual_fmac_f32 v9, v16, v141 :: v_dual_add_f32 v26, v6, v2
	v_sub_f32_e32 v28, v6, v2
	v_dual_sub_f32 v30, v0, v14 :: v_dual_fmac_f32 v29, v15, v147
	v_add_f32_e32 v15, v50, v196
	v_mul_f32_e32 v23, v199, v146
	v_fmac_f32_e32 v17, v21, v143
	ds_load_b32 v1, v184
	ds_load_b32 v7, v188
	;; [unrolled: 1-line block ×7, first 2 shown]
	global_wb scope:SCOPE_SE
	s_wait_dscnt 0x0
	v_dual_sub_f32 v2, v2, v15 :: v_dual_fmac_f32 v23, v12, v145
	v_sub_f32_e32 v12, v19, v197
	v_sub_f32_e32 v19, v107, v53
	v_add_f32_e32 v5, v208, v51
	s_delay_alu instid0(VALU_DEP_4) | instskip(NEXT) | instid1(VALU_DEP_4)
	v_dual_sub_f32 v3, v151, v201 :: v_dual_mul_f32 v2, 0x3f4a47b2, v2
	v_add_f32_e32 v31, v20, v12
	s_delay_alu instid0(VALU_DEP_4) | instskip(NEXT) | instid1(VALU_DEP_4)
	v_sub_f32_e32 v32, v19, v8
	v_add_f32_e32 v21, v5, v0
	v_sub_f32_e32 v27, v5, v0
	v_dual_add_f32 v0, v19, v8 :: v_dual_sub_f32 v5, v14, v5
	s_delay_alu instid0(VALU_DEP_3) | instskip(SKIP_2) | instid1(VALU_DEP_4)
	v_dual_sub_f32 v37, v20, v12 :: v_dual_add_f32 v14, v14, v21
	v_sub_f32_e32 v12, v12, v4
	v_sub_f32_e32 v50, v8, v3
	v_dual_sub_f32 v6, v15, v6 :: v_dual_mul_f32 v21, 0x3d64c772, v5
	s_delay_alu instid0(VALU_DEP_4) | instskip(SKIP_2) | instid1(VALU_DEP_4)
	v_add_f32_e32 v8, v81, v14
	v_add_f32_e32 v15, v15, v26
	v_sub_f32_e32 v19, v3, v19
	v_dual_add_f32 v3, v0, v3 :: v_dual_mul_f32 v26, 0x3d64c772, v6
	s_delay_alu instid0(VALU_DEP_4) | instskip(NEXT) | instid1(VALU_DEP_4)
	v_fmamk_f32 v14, v14, 0xbf955555, v8
	v_add_f32_e32 v0, v1, v15
	v_fmamk_f32 v6, v6, 0x3d64c772, v2
	v_sub_f32_e32 v20, v4, v20
	v_add_f32_e32 v4, v31, v4
	v_fma_f32 v21, 0x3f3bfb3b, v27, -v21
	v_fmamk_f32 v15, v15, 0xbf955555, v0
	v_mul_f32_e32 v1, 0x3f4a47b2, v30
	v_mul_f32_e32 v30, 0x3f08b237, v32
	;; [unrolled: 1-line block ×3, first 2 shown]
	v_fma_f32 v26, 0x3f3bfb3b, v28, -v26
	s_delay_alu instid0(VALU_DEP_4)
	v_dual_add_f32 v6, v6, v15 :: v_dual_fmamk_f32 v5, v5, 0x3d64c772, v1
	v_fma_f32 v1, 0xbf3bfb3b, v27, -v1
	v_mul_f32_e32 v31, 0x3f08b237, v37
	v_mul_f32_e32 v37, 0xbf5ff5aa, v12
	v_fma_f32 v2, 0xbf3bfb3b, v28, -v2
	v_fmamk_f32 v51, v19, 0xbeae86e6, v30
	v_fma_f32 v50, 0xbf5ff5aa, v50, -v30
	v_fmamk_f32 v28, v20, 0xbeae86e6, v31
	v_fma_f32 v19, 0x3eae86e6, v19, -v32
	v_fma_f32 v20, 0x3eae86e6, v20, -v37
	v_add_f32_e32 v37, v5, v14
	v_dual_add_f32 v5, v21, v14 :: v_dual_fmac_f32 v50, 0xbee1c552, v3
	v_add_f32_e32 v14, v1, v14
	v_fma_f32 v12, 0xbf5ff5aa, v12, -v31
	v_dual_fmac_f32 v28, 0xbee1c552, v4 :: v_dual_add_f32 v21, v26, v15
	v_dual_fmac_f32 v20, 0xbee1c552, v4 :: v_dual_fmac_f32 v19, 0xbee1c552, v3
	s_delay_alu instid0(VALU_DEP_3) | instskip(NEXT) | instid1(VALU_DEP_3)
	v_dual_fmac_f32 v12, 0xbee1c552, v4 :: v_dual_fmac_f32 v51, 0xbee1c552, v3
	v_dual_add_f32 v26, v28, v37 :: v_dual_add_f32 v15, v2, v15
	s_delay_alu instid0(VALU_DEP_3) | instskip(NEXT) | instid1(VALU_DEP_3)
	v_add_f32_e32 v30, v20, v14
	v_dual_sub_f32 v32, v5, v12 :: v_dual_sub_f32 v1, v6, v51
	v_dual_sub_f32 v28, v37, v28 :: v_dual_add_f32 v3, v50, v21
	v_dual_add_f32 v27, v12, v5 :: v_dual_add_f32 v6, v51, v6
	v_sub_f32_e32 v4, v21, v50
	v_dual_sub_f32 v2, v15, v19 :: v_dual_sub_f32 v31, v14, v20
	v_dual_add_f32 v12, v209, v198 :: v_dual_add_f32 v5, v19, v15
	v_add_f32_e32 v20, v52, v44
	v_dual_add_f32 v14, v79, v85 :: v_dual_sub_f32 v15, v209, v198
	v_sub_f32_e32 v19, v79, v85
	v_add_f32_e32 v21, v46, v49
	v_dual_sub_f32 v37, v52, v44 :: v_dual_sub_f32 v44, v46, v49
	v_add_f32_e32 v46, v149, v194
	v_dual_add_f32 v49, v193, v48 :: v_dual_sub_f32 v50, v194, v149
	s_delay_alu instid0(VALU_DEP_3)
	v_dual_sub_f32 v48, v48, v193 :: v_dual_sub_f32 v129, v37, v15
	v_add_f32_e32 v51, v20, v12
	v_sub_f32_e32 v53, v20, v12
	v_sub_f32_e32 v12, v12, v46
	;; [unrolled: 1-line block ×3, first 2 shown]
	v_add_f32_e32 v52, v21, v14
	v_dual_sub_f32 v14, v14, v49 :: v_dual_add_f32 v81, v48, v44
	v_dual_sub_f32 v20, v46, v20 :: v_dual_sub_f32 v21, v49, v21
	v_dual_sub_f32 v107, v48, v44 :: v_dual_add_f32 v46, v46, v51
	s_delay_alu instid0(VALU_DEP_4)
	v_dual_add_f32 v49, v49, v52 :: v_dual_sub_f32 v44, v44, v19
	v_add_f32_e32 v79, v50, v37
	v_dual_sub_f32 v85, v50, v37 :: v_dual_sub_f32 v48, v19, v48
	v_dual_add_f32 v19, v81, v19 :: v_dual_mul_f32 v14, 0x3f4a47b2, v14
	v_dual_add_f32 v37, v80, v46 :: v_dual_mul_f32 v52, 0x3d64c772, v21
	v_dual_add_f32 v7, v7, v49 :: v_dual_mul_f32 v80, 0x3f08b237, v107
	v_sub_f32_e32 v50, v15, v50
	v_dual_add_f32 v15, v79, v15 :: v_dual_mul_f32 v12, 0x3f4a47b2, v12
	v_fmamk_f32 v21, v21, 0x3d64c772, v14
	v_fma_f32 v52, 0x3f3bfb3b, v78, -v52
	v_fma_f32 v14, 0xbf3bfb3b, v78, -v14
	v_fmamk_f32 v78, v48, 0xbeae86e6, v80
	v_dual_mul_f32 v51, 0x3d64c772, v20 :: v_dual_fmamk_f32 v20, v20, 0x3d64c772, v12
	v_fma_f32 v12, 0xbf3bfb3b, v53, -v12
	s_barrier_signal -1
	s_delay_alu instid0(VALU_DEP_3)
	v_fmac_f32_e32 v78, 0xbee1c552, v19
	v_fmamk_f32 v49, v49, 0xbf955555, v7
	v_fmamk_f32 v46, v46, 0xbf955555, v37
	v_fma_f32 v51, 0x3f3bfb3b, v53, -v51
	s_barrier_wait -1
	global_inv scope:SCOPE_SE
	v_add_f32_e32 v21, v21, v49
	v_mul_f32_e32 v79, 0x3f08b237, v85
	v_mul_f32_e32 v81, 0xbf5ff5aa, v129
	;; [unrolled: 1-line block ×3, first 2 shown]
	v_fma_f32 v44, 0xbf5ff5aa, v44, -v80
	v_add_f32_e32 v80, v20, v46
	v_add_f32_e32 v20, v51, v46
	;; [unrolled: 1-line block ×3, first 2 shown]
	v_fma_f32 v48, 0x3eae86e6, v48, -v85
	s_delay_alu instid0(VALU_DEP_4)
	v_dual_add_f32 v51, v52, v49 :: v_dual_add_f32 v52, v78, v80
	v_add_f32_e32 v49, v14, v49
	v_fmamk_f32 v53, v50, 0xbeae86e6, v79
	v_fma_f32 v50, 0x3eae86e6, v50, -v81
	v_fma_f32 v79, 0xbf5ff5aa, v129, -v79
	v_fmac_f32_e32 v48, 0xbee1c552, v19
	v_fmac_f32_e32 v44, 0xbee1c552, v19
	ds_store_2addr_b32 v184, v8, v26 offset1:49
	ds_store_2addr_b32 v184, v30, v32 offset0:98 offset1:147
	v_fmac_f32_e32 v50, 0xbee1c552, v15
	v_lshl_add_u32 v30, v74, 2, 0
	v_add_f32_e32 v81, v48, v46
	v_sub_f32_e32 v85, v20, v44
	v_sub_f32_e32 v46, v46, v48
	v_dual_sub_f32 v14, v49, v50 :: v_dual_fmac_f32 v53, 0xbee1c552, v15
	v_dual_fmac_f32 v79, 0xbee1c552, v15 :: v_dual_sub_f32 v48, v80, v78
	v_add_f32_e32 v78, v47, v88
	s_delay_alu instid0(VALU_DEP_3) | instskip(NEXT) | instid1(VALU_DEP_3)
	v_dual_sub_f32 v47, v47, v88 :: v_dual_sub_f32 v12, v21, v53
	v_add_f32_e32 v15, v79, v51
	v_sub_f32_e32 v19, v51, v79
	v_dual_add_f32 v21, v53, v21 :: v_dual_add_f32 v44, v44, v20
	v_add_f32_e32 v20, v50, v49
	v_dual_add_f32 v49, v42, v84 :: v_dual_add_f32 v80, v40, v83
	v_dual_add_f32 v50, v82, v89 :: v_dual_add_f32 v53, v207, v87
	v_sub_f32_e32 v51, v82, v89
	v_dual_sub_f32 v42, v42, v84 :: v_dual_sub_f32 v79, v207, v87
	v_add_f32_e32 v82, v86, v45
	v_dual_sub_f32 v40, v83, v40 :: v_dual_sub_f32 v45, v45, v86
	v_dual_add_f32 v83, v53, v49 :: v_dual_add_f32 v84, v78, v50
	v_dual_sub_f32 v86, v53, v49 :: v_dual_sub_f32 v87, v78, v50
	s_delay_alu instid0(VALU_DEP_4)
	v_dual_sub_f32 v49, v49, v80 :: v_dual_sub_f32 v50, v50, v82
	v_dual_sub_f32 v53, v80, v53 :: v_dual_sub_f32 v78, v82, v78
	v_add_f32_e32 v88, v40, v79
	v_add_f32_e32 v89, v45, v47
	v_dual_sub_f32 v107, v40, v79 :: v_dual_add_f32 v82, v82, v84
	v_dual_sub_f32 v129, v45, v47 :: v_dual_sub_f32 v40, v42, v40
	v_sub_f32_e32 v45, v51, v45
	v_dual_sub_f32 v79, v79, v42 :: v_dual_add_f32 v80, v80, v83
	s_delay_alu instid0(VALU_DEP_4) | instskip(SKIP_4) | instid1(VALU_DEP_3)
	v_dual_sub_f32 v47, v47, v51 :: v_dual_add_f32 v34, v34, v82
	v_dual_add_f32 v42, v88, v42 :: v_dual_add_f32 v51, v89, v51
	v_mul_f32_e32 v50, 0x3f4a47b2, v50
	v_dual_mul_f32 v88, 0x3f08b237, v107 :: v_dual_mul_f32 v89, 0x3f08b237, v129
	v_dual_add_f32 v61, v61, v80 :: v_dual_mul_f32 v84, 0x3d64c772, v78
	v_dual_mul_f32 v83, 0x3d64c772, v53 :: v_dual_fmamk_f32 v78, v78, 0x3d64c772, v50
	v_fmamk_f32 v82, v82, 0xbf955555, v34
	v_mul_f32_e32 v49, 0x3f4a47b2, v49
	v_fma_f32 v50, 0xbf3bfb3b, v87, -v50
	v_mul_f32_e32 v129, 0xbf5ff5aa, v47
	v_fma_f32 v47, 0xbf5ff5aa, v47, -v89
	v_fma_f32 v83, 0x3f3bfb3b, v86, -v83
	;; [unrolled: 1-line block ×3, first 2 shown]
	v_dual_add_f32 v50, v50, v82 :: v_dual_fmamk_f32 v87, v45, 0xbeae86e6, v89
	s_delay_alu instid0(VALU_DEP_4)
	v_dual_add_f32 v78, v78, v82 :: v_dual_fmac_f32 v47, 0xbee1c552, v51
	v_fmamk_f32 v53, v53, 0x3d64c772, v49
	v_fma_f32 v49, 0xbf3bfb3b, v86, -v49
	v_fmamk_f32 v86, v40, 0xbeae86e6, v88
	v_fma_f32 v45, 0x3eae86e6, v45, -v129
	v_fmac_f32_e32 v87, 0xbee1c552, v51
	v_add_nc_u32_e32 v8, 0x600, v184
	v_lshl_add_u32 v26, v57, 2, 0
	v_fmac_f32_e32 v86, 0xbee1c552, v42
	v_fmamk_f32 v80, v80, 0xbf955555, v61
	v_fmac_f32_e32 v45, 0xbee1c552, v51
	v_add_nc_u32_e32 v32, 0x1400, v30
	ds_store_2addr_b32 v184, v27, v31 offset0:196 offset1:245
	v_sub_f32_e32 v51, v78, v86
	v_add_f32_e32 v53, v53, v80
	v_dual_mul_f32 v107, 0xbf5ff5aa, v79 :: v_dual_add_f32 v84, v84, v82
	v_fma_f32 v79, 0xbf5ff5aa, v79, -v88
	v_dual_add_f32 v49, v49, v80 :: v_dual_add_f32 v88, v39, v95
	s_delay_alu instid0(VALU_DEP_3) | instskip(SKIP_1) | instid1(VALU_DEP_4)
	v_fma_f32 v40, 0x3eae86e6, v40, -v107
	v_add_f32_e32 v83, v83, v80
	v_fmac_f32_e32 v79, 0xbee1c552, v42
	v_sub_f32_e32 v39, v95, v39
	ds_store_2addr_b32 v185, v28, v37 offset0:38 offset1:87
	ds_store_2addr_b32 v185, v52, v81 offset0:136 offset1:185
	;; [unrolled: 1-line block ×3, first 2 shown]
	v_fmac_f32_e32 v40, 0xbee1c552, v42
	v_add_f32_e32 v42, v87, v53
	v_add_f32_e32 v80, v45, v49
	v_dual_add_f32 v130, v79, v84 :: v_dual_sub_f32 v131, v84, v79
	s_delay_alu instid0(VALU_DEP_4)
	v_dual_sub_f32 v129, v50, v40 :: v_dual_add_f32 v84, v92, v98
	v_add_f32_e32 v40, v40, v50
	v_sub_f32_e32 v82, v83, v47
	v_dual_add_f32 v47, v47, v83 :: v_dual_add_f32 v50, v86, v78
	v_dual_add_f32 v78, v90, v100 :: v_dual_sub_f32 v45, v49, v45
	v_dual_sub_f32 v86, v92, v98 :: v_dual_sub_f32 v79, v90, v100
	v_add_f32_e32 v83, v41, v94
	v_sub_f32_e32 v49, v53, v87
	v_add_f32_e32 v87, v91, v93
	v_sub_f32_e32 v89, v93, v91
	v_add_f32_e32 v91, v84, v78
	v_dual_sub_f32 v93, v84, v78 :: v_dual_sub_f32 v78, v78, v88
	v_dual_sub_f32 v84, v88, v84 :: v_dual_sub_f32 v41, v41, v94
	s_delay_alu instid0(VALU_DEP_3) | instskip(SKIP_1) | instid1(VALU_DEP_4)
	v_add_f32_e32 v88, v88, v91
	v_lshl_add_u32 v37, v75, 2, 0
	v_mul_f32_e32 v78, 0x3f4a47b2, v78
	s_delay_alu instid0(VALU_DEP_4)
	v_mul_f32_e32 v91, 0x3d64c772, v84
	v_lshl_add_u32 v27, v59, 2, 0
	v_add_f32_e32 v132, v106, v88
	v_sub_f32_e32 v98, v39, v86
	v_dual_add_f32 v53, v43, v96 :: v_dual_add_f32 v94, v89, v41
	v_fmamk_f32 v84, v84, 0x3d64c772, v78
	v_add_nc_u32_e32 v28, 0x800, v26
	s_delay_alu instid0(VALU_DEP_3) | instskip(SKIP_3) | instid1(VALU_DEP_4)
	v_dual_add_f32 v90, v83, v53 :: v_dual_add_nc_u32 v31, 0x1000, v27
	v_dual_sub_f32 v92, v83, v53 :: v_dual_sub_f32 v53, v53, v87
	v_dual_sub_f32 v43, v43, v96 :: v_dual_sub_f32 v96, v89, v41
	v_sub_f32_e32 v83, v87, v83
	v_add_f32_e32 v87, v87, v90
	v_dual_add_f32 v95, v39, v86 :: v_dual_sub_f32 v86, v86, v79
	s_delay_alu instid0(VALU_DEP_4)
	v_sub_f32_e32 v89, v43, v89
	v_mul_f32_e32 v53, 0x3f4a47b2, v53
	v_dual_sub_f32 v41, v41, v43 :: v_dual_fmamk_f32 v88, v88, 0xbf955555, v132
	v_sub_f32_e32 v39, v79, v39
	v_add_f32_e32 v60, v60, v87
	v_add_f32_e32 v79, v95, v79
	v_mul_f32_e32 v95, 0x3f08b237, v98
	v_dual_mul_f32 v98, 0xbf5ff5aa, v86 :: v_dual_add_f32 v43, v94, v43
	v_mul_f32_e32 v94, 0x3f08b237, v96
	v_mul_f32_e32 v90, 0x3d64c772, v83
	v_fma_f32 v78, 0xbf3bfb3b, v93, -v78
	v_mul_f32_e32 v96, 0xbf5ff5aa, v41
	v_add_f32_e32 v84, v84, v88
	v_fma_f32 v41, 0xbf5ff5aa, v41, -v94
	v_fma_f32 v90, 0x3f3bfb3b, v92, -v90
	v_add_f32_e32 v78, v78, v88
	v_fma_f32 v86, 0xbf5ff5aa, v86, -v95
	ds_store_2addr_b32 v67, v46, v48 offset0:76 offset1:125
	v_add_nc_u32_e32 v44, 0x2000, v37
	v_fmac_f32_e32 v86, 0xbee1c552, v79
	v_fmamk_f32 v83, v83, 0x3d64c772, v53
	v_fma_f32 v53, 0xbf3bfb3b, v92, -v53
	v_fmamk_f32 v92, v89, 0xbeae86e6, v94
	v_fma_f32 v89, 0x3eae86e6, v89, -v96
	v_add_f32_e32 v94, v104, v103
	v_dual_fmac_f32 v41, 0xbee1c552, v43 :: v_dual_sub_f32 v96, v103, v104
	s_delay_alu instid0(VALU_DEP_4) | instskip(NEXT) | instid1(VALU_DEP_4)
	v_fmac_f32_e32 v92, 0xbee1c552, v43
	v_fmac_f32_e32 v89, 0xbee1c552, v43
	s_delay_alu instid0(VALU_DEP_2) | instskip(NEXT) | instid1(VALU_DEP_2)
	v_dual_fmamk_f32 v87, v87, 0xbf955555, v60 :: v_dual_add_f32 v136, v92, v84
	v_sub_f32_e32 v134, v78, v89
	s_delay_alu instid0(VALU_DEP_2)
	v_add_f32_e32 v90, v90, v87
	v_fma_f32 v91, 0x3f3bfb3b, v93, -v91
	v_fmamk_f32 v93, v39, 0xbeae86e6, v95
	v_fma_f32 v39, 0x3eae86e6, v39, -v98
	v_add_f32_e32 v83, v83, v87
	v_sub_f32_e32 v133, v84, v92
	v_add_f32_e32 v91, v91, v88
	v_dual_fmac_f32 v93, 0xbee1c552, v79 :: v_dual_sub_f32 v88, v99, v105
	v_add_f32_e32 v53, v53, v87
	v_fmac_f32_e32 v39, 0xbee1c552, v79
	v_add_f32_e32 v84, v102, v115
	v_sub_f32_e32 v92, v97, v114
	v_add_f32_e32 v95, v113, v112
	v_sub_f32_e32 v87, v90, v86
	v_dual_add_f32 v79, v39, v53 :: v_dual_add_f32 v86, v86, v90
	v_sub_f32_e32 v39, v53, v39
	v_add_f32_e32 v90, v97, v114
	v_add_f32_e32 v43, v93, v83
	v_dual_add_f32 v53, v89, v78 :: v_dual_sub_f32 v78, v83, v93
	v_add_f32_e32 v83, v99, v105
	v_dual_add_f32 v135, v41, v91 :: v_dual_sub_f32 v104, v96, v92
	v_dual_sub_f32 v89, v102, v115 :: v_dual_add_f32 v102, v96, v92
	v_dual_sub_f32 v92, v92, v88 :: v_dual_sub_f32 v41, v91, v41
	s_delay_alu instid0(VALU_DEP_4) | instskip(SKIP_2) | instid1(VALU_DEP_3)
	v_dual_add_f32 v98, v90, v83 :: v_dual_add_f32 v91, v101, v116
	v_dual_sub_f32 v100, v90, v83 :: v_dual_sub_f32 v83, v83, v94
	v_sub_f32_e32 v90, v94, v90
	v_dual_add_f32 v94, v94, v98 :: v_dual_sub_f32 v93, v101, v116
	v_sub_f32_e32 v97, v112, v113
	v_add_f32_e32 v99, v91, v84
	v_sub_f32_e32 v96, v88, v96
	v_add_f32_e32 v88, v102, v88
	v_add_f32_e32 v58, v58, v94
	v_mul_f32_e32 v102, 0x3f08b237, v104
	v_mul_f32_e32 v83, 0x3f4a47b2, v83
	v_dual_sub_f32 v101, v91, v84 :: v_dual_mul_f32 v98, 0x3d64c772, v90
	v_sub_f32_e32 v84, v84, v95
	v_dual_sub_f32 v91, v95, v91 :: v_dual_mul_f32 v104, 0xbf5ff5aa, v92
	v_dual_add_f32 v103, v97, v93 :: v_dual_fmamk_f32 v94, v94, 0xbf955555, v58
	v_dual_sub_f32 v105, v97, v93 :: v_dual_fmamk_f32 v90, v90, 0x3d64c772, v83
	s_delay_alu instid0(VALU_DEP_4)
	v_dual_add_f32 v95, v95, v99 :: v_dual_mul_f32 v84, 0x3f4a47b2, v84
	v_sub_f32_e32 v97, v89, v97
	v_fma_f32 v98, 0x3f3bfb3b, v100, -v98
	v_fma_f32 v83, 0xbf3bfb3b, v100, -v83
	v_fmamk_f32 v100, v96, 0xbeae86e6, v102
	v_fma_f32 v96, 0x3eae86e6, v96, -v104
	v_add_f32_e32 v90, v90, v94
	v_dual_add_f32 v112, v126, v95 :: v_dual_sub_f32 v93, v93, v89
	v_add_f32_e32 v98, v98, v94
	s_delay_alu instid0(VALU_DEP_4) | instskip(SKIP_1) | instid1(VALU_DEP_4)
	v_dual_add_f32 v83, v83, v94 :: v_dual_fmac_f32 v96, 0xbee1c552, v88
	v_mul_f32_e32 v99, 0x3d64c772, v91
	v_fmamk_f32 v95, v95, 0xbf955555, v112
	v_fmamk_f32 v91, v91, 0x3d64c772, v84
	v_fma_f32 v84, 0xbf3bfb3b, v101, -v84
	v_add_f32_e32 v89, v103, v89
	v_fma_f32 v92, 0xbf5ff5aa, v92, -v102
	v_fmac_f32_e32 v100, 0xbee1c552, v88
	s_delay_alu instid0(VALU_DEP_4) | instskip(NEXT) | instid1(VALU_DEP_3)
	v_add_f32_e32 v84, v84, v95
	v_fmac_f32_e32 v92, 0xbee1c552, v88
	s_delay_alu instid0(VALU_DEP_2) | instskip(SKIP_3) | instid1(VALU_DEP_3)
	v_sub_f32_e32 v126, v84, v96
	v_fma_f32 v99, 0x3f3bfb3b, v101, -v99
	v_add_f32_e32 v139, v96, v84
	v_add_f32_e32 v96, v119, v124
	;; [unrolled: 1-line block ×3, first 2 shown]
	s_delay_alu instid0(VALU_DEP_1) | instskip(NEXT) | instid1(VALU_DEP_1)
	v_dual_mul_f32 v103, 0x3f08b237, v105 :: v_dual_sub_f32 v138, v99, v92
	v_fmamk_f32 v101, v97, 0xbeae86e6, v103
	v_add_f32_e32 v137, v92, v99
	v_dual_add_f32 v99, v120, v123 :: v_dual_sub_f32 v92, v117, v125
	s_delay_alu instid0(VALU_DEP_3) | instskip(NEXT) | instid1(VALU_DEP_1)
	v_fmac_f32_e32 v101, 0xbee1c552, v89
	v_dual_sub_f32 v84, v90, v101 :: v_dual_add_f32 v91, v91, v95
	v_mul_f32_e32 v105, 0xbf5ff5aa, v93
	v_fma_f32 v93, 0xbf5ff5aa, v93, -v103
	v_add_f32_e32 v88, v101, v90
	v_add_f32_e32 v90, v35, v122
	;; [unrolled: 1-line block ×3, first 2 shown]
	v_fma_f32 v97, 0x3eae86e6, v97, -v105
	v_fmac_f32_e32 v93, 0xbee1c552, v89
	v_sub_f32_e32 v113, v91, v100
	v_dual_add_f32 v91, v117, v125 :: v_dual_sub_f32 v100, v123, v120
	s_delay_alu instid0(VALU_DEP_4) | instskip(NEXT) | instid1(VALU_DEP_4)
	v_fmac_f32_e32 v97, 0xbee1c552, v89
	v_dual_sub_f32 v94, v98, v93 :: v_dual_add_f32 v93, v93, v98
	s_delay_alu instid0(VALU_DEP_3) | instskip(NEXT) | instid1(VALU_DEP_3)
	v_add_f32_e32 v102, v96, v91
	v_dual_add_f32 v98, v36, v118 :: v_dual_add_f32 v89, v97, v83
	v_dual_sub_f32 v83, v83, v97 :: v_dual_sub_f32 v104, v96, v91
	v_sub_f32_e32 v97, v119, v124
	v_dual_sub_f32 v35, v35, v122 :: v_dual_sub_f32 v36, v118, v36
	s_delay_alu instid0(VALU_DEP_2) | instskip(SKIP_2) | instid1(VALU_DEP_1)
	v_add_f32_e32 v106, v100, v97
	v_add_f32_e32 v95, v38, v121
	v_sub_f32_e32 v38, v38, v121
	v_add_f32_e32 v105, v36, v38
	v_dual_sub_f32 v107, v36, v38 :: v_dual_sub_f32 v36, v35, v36
	s_delay_alu instid0(VALU_DEP_4)
	v_dual_sub_f32 v38, v38, v35 :: v_dual_add_f32 v101, v95, v90
	v_dual_sub_f32 v114, v100, v97 :: v_dual_sub_f32 v103, v95, v90
	v_sub_f32_e32 v100, v92, v100
	v_sub_f32_e32 v90, v90, v98
	;; [unrolled: 1-line block ×3, first 2 shown]
	v_add_f32_e32 v98, v98, v101
	v_sub_f32_e32 v96, v99, v96
	v_sub_f32_e32 v91, v91, v99
	;; [unrolled: 1-line block ×3, first 2 shown]
	v_add_f32_e32 v92, v106, v92
	v_mul_f32_e32 v106, 0x3f08b237, v114
	v_add_f32_e32 v55, v55, v98
	v_add_f32_e32 v99, v99, v102
	v_dual_mul_f32 v90, 0x3f4a47b2, v90 :: v_dual_mul_f32 v91, 0x3f4a47b2, v91
	v_dual_mul_f32 v101, 0x3d64c772, v95 :: v_dual_mul_f32 v102, 0x3d64c772, v96
	v_dual_add_f32 v35, v105, v35 :: v_dual_mul_f32 v114, 0xbf5ff5aa, v97
	s_delay_alu instid0(VALU_DEP_3) | instskip(NEXT) | instid1(VALU_DEP_3)
	v_fmamk_f32 v96, v96, 0x3d64c772, v91
	v_fma_f32 v101, 0x3f3bfb3b, v103, -v101
	s_delay_alu instid0(VALU_DEP_4)
	v_fma_f32 v102, 0x3f3bfb3b, v104, -v102
	v_fmamk_f32 v95, v95, 0x3d64c772, v90
	v_fma_f32 v90, 0xbf3bfb3b, v103, -v90
	v_fma_f32 v91, 0xbf3bfb3b, v104, -v91
	v_fmamk_f32 v104, v100, 0xbeae86e6, v106
	v_dual_fmamk_f32 v98, v98, 0xbf955555, v55 :: v_dual_add_f32 v127, v127, v99
	v_fma_f32 v97, 0xbf5ff5aa, v97, -v106
	v_fma_f32 v100, 0x3eae86e6, v100, -v114
	s_delay_alu instid0(VALU_DEP_4) | instskip(NEXT) | instid1(VALU_DEP_4)
	v_fmac_f32_e32 v104, 0xbee1c552, v92
	v_dual_add_f32 v90, v90, v98 :: v_dual_fmamk_f32 v99, v99, 0xbf955555, v127
	v_add_f32_e32 v101, v101, v98
	v_fmac_f32_e32 v97, 0xbee1c552, v92
	v_mul_f32_e32 v105, 0x3f08b237, v107
	s_delay_alu instid0(VALU_DEP_4) | instskip(NEXT) | instid1(VALU_DEP_3)
	v_dual_mul_f32 v107, 0xbf5ff5aa, v38 :: v_dual_add_f32 v102, v102, v99
	v_dual_add_f32 v95, v95, v98 :: v_dual_sub_f32 v98, v101, v97
	s_delay_alu instid0(VALU_DEP_3) | instskip(SKIP_2) | instid1(VALU_DEP_3)
	v_fma_f32 v38, 0xbf5ff5aa, v38, -v105
	v_fmac_f32_e32 v100, 0xbee1c552, v92
	v_fmamk_f32 v103, v36, 0xbeae86e6, v105
	v_fmac_f32_e32 v38, 0xbee1c552, v35
	s_delay_alu instid0(VALU_DEP_3) | instskip(NEXT) | instid1(VALU_DEP_3)
	v_add_f32_e32 v92, v100, v90
	v_dual_sub_f32 v90, v90, v100 :: v_dual_fmac_f32 v103, 0xbee1c552, v35
	v_add_f32_e32 v97, v97, v101
	s_delay_alu instid0(VALU_DEP_4) | instskip(SKIP_4) | instid1(VALU_DEP_3)
	v_add_f32_e32 v143, v38, v102
	v_sub_f32_e32 v38, v102, v38
	v_add_f32_e32 v96, v96, v99
	v_fma_f32 v36, 0x3eae86e6, v36, -v107
	v_add_f32_e32 v91, v91, v99
	v_sub_f32_e32 v141, v96, v103
	s_delay_alu instid0(VALU_DEP_3) | instskip(SKIP_3) | instid1(VALU_DEP_4)
	v_fmac_f32_e32 v36, 0xbee1c552, v35
	v_dual_add_f32 v35, v104, v95 :: v_dual_add_f32 v144, v103, v96
	v_add_f32_e32 v96, v18, v33
	v_sub_f32_e32 v18, v18, v33
	v_sub_f32_e32 v142, v91, v36
	v_dual_add_f32 v36, v36, v91 :: v_dual_sub_f32 v91, v95, v104
	v_add_f32_e32 v33, v13, v25
	v_add_f32_e32 v95, v11, v29
	v_sub_f32_e32 v11, v11, v29
	v_sub_f32_e32 v13, v13, v25
	v_add_f32_e32 v25, v22, v24
	v_add_f32_e32 v29, v10, v23
	v_dual_sub_f32 v10, v10, v23 :: v_dual_add_f32 v23, v9, v17
	v_sub_f32_e32 v9, v17, v9
	v_dual_sub_f32 v17, v24, v22 :: v_dual_sub_f32 v100, v33, v96
	s_delay_alu instid0(VALU_DEP_2) | instskip(SKIP_4) | instid1(VALU_DEP_1)
	v_add_f32_e32 v101, v9, v10
	v_dual_sub_f32 v103, v9, v10 :: v_dual_sub_f32 v10, v10, v11
	v_add_f32_e32 v24, v33, v96
	v_sub_f32_e32 v96, v96, v25
	v_add_f32_e32 v22, v29, v95
	v_add_f32_e32 v22, v23, v22
	;; [unrolled: 1-line block ×3, first 2 shown]
	v_sub_f32_e32 v33, v25, v33
	v_sub_f32_e32 v99, v29, v95
	;; [unrolled: 1-line block ×5, first 2 shown]
	v_dual_add_f32 v18, v102, v18 :: v_dual_sub_f32 v95, v95, v23
	s_delay_alu instid0(VALU_DEP_4) | instskip(SKIP_1) | instid1(VALU_DEP_3)
	v_dual_mul_f32 v102, 0x3f08b237, v104 :: v_dual_sub_f32 v29, v23, v29
	v_dual_add_f32 v23, v25, v24 :: v_dual_add_f32 v24, v54, v22
	v_dual_mul_f32 v25, 0x3f4a47b2, v95 :: v_dual_mul_f32 v54, 0x3f4a47b2, v96
	v_mul_f32_e32 v104, 0xbf5ff5aa, v13
	s_delay_alu instid0(VALU_DEP_3) | instskip(NEXT) | instid1(VALU_DEP_4)
	v_dual_add_f32 v16, v16, v23 :: v_dual_mul_f32 v95, 0x3d64c772, v29
	v_fmamk_f32 v22, v22, 0xbf955555, v24
	s_delay_alu instid0(VALU_DEP_4) | instskip(SKIP_1) | instid1(VALU_DEP_4)
	v_dual_mul_f32 v96, 0x3d64c772, v33 :: v_dual_fmamk_f32 v29, v29, 0x3d64c772, v25
	v_fma_f32 v25, 0xbf3bfb3b, v99, -v25
	v_fma_f32 v95, 0x3f3bfb3b, v99, -v95
	v_fmamk_f32 v33, v33, 0x3d64c772, v54
	s_delay_alu instid0(VALU_DEP_4)
	v_fma_f32 v96, 0x3f3bfb3b, v100, -v96
	v_fma_f32 v54, 0xbf3bfb3b, v100, -v54
	v_add_f32_e32 v29, v29, v22
	v_add_f32_e32 v95, v95, v22
	v_dual_add_f32 v22, v25, v22 :: v_dual_sub_f32 v9, v11, v9
	v_fmamk_f32 v100, v17, 0xbeae86e6, v102
	v_fma_f32 v17, 0x3eae86e6, v17, -v104
	s_delay_alu instid0(VALU_DEP_2) | instskip(SKIP_1) | instid1(VALU_DEP_3)
	v_fmac_f32_e32 v100, 0xbee1c552, v18
	v_fmamk_f32 v23, v23, 0xbf955555, v16
	v_fmac_f32_e32 v17, 0xbee1c552, v18
	s_delay_alu instid0(VALU_DEP_2)
	v_add_f32_e32 v33, v33, v23
	v_add_f32_e32 v96, v96, v23
	;; [unrolled: 1-line block ×4, first 2 shown]
	v_mul_f32_e32 v101, 0x3f08b237, v103
	v_mul_f32_e32 v103, 0xbf5ff5aa, v10
	v_add_f32_e32 v25, v17, v22
	v_dual_sub_f32 v17, v22, v17 :: v_dual_sub_f32 v22, v29, v100
	s_delay_alu instid0(VALU_DEP_4) | instskip(NEXT) | instid1(VALU_DEP_4)
	v_fmamk_f32 v99, v9, 0xbeae86e6, v101
	v_fma_f32 v9, 0x3eae86e6, v9, -v103
	v_fma_f32 v10, 0xbf5ff5aa, v10, -v101
	s_delay_alu instid0(VALU_DEP_2) | instskip(NEXT) | instid1(VALU_DEP_1)
	v_fmac_f32_e32 v9, 0xbee1c552, v11
	v_dual_sub_f32 v54, v23, v9 :: v_dual_fmac_f32 v99, 0xbee1c552, v11
	s_delay_alu instid0(VALU_DEP_3)
	v_fmac_f32_e32 v10, 0xbee1c552, v11
	v_fma_f32 v13, 0xbf5ff5aa, v13, -v102
	v_add_f32_e32 v11, v100, v29
	v_add_f32_e32 v9, v9, v23
	v_add_f32_e32 v23, v99, v33
	v_add_nc_u32_e32 v29, 0xc00, v26
	v_dual_fmac_f32 v13, 0xbee1c552, v18 :: v_dual_sub_f32 v18, v33, v99
	v_lshl_add_u32 v33, v73, 2, 0
	ds_store_2addr_b32 v28, v61, v42 offset0:174 offset1:223
	ds_store_2addr_b32 v29, v80, v82 offset0:16 offset1:65
	;; [unrolled: 1-line block ×7, first 2 shown]
	v_add_nc_u32_e32 v39, 0x1800, v30
	v_add_nc_u32_e32 v42, 0x1800, v33
	v_add_nc_u32_e32 v43, 0x1c00, v33
	v_sub_f32_e32 v101, v95, v13
	v_add_f32_e32 v145, v10, v96
	v_dual_add_f32 v13, v13, v95 :: v_dual_sub_f32 v10, v96, v10
	ds_store_2addr_b32 v32, v89, v94 offset0:190 offset1:239
	ds_store_2addr_b32 v39, v93, v83 offset0:32 offset1:81
	;; [unrolled: 1-line block ×8, first 2 shown]
	ds_store_b32 v26, v49 offset:3920
	ds_store_b32 v27, v78 offset:5292
	;; [unrolled: 1-line block ×5, first 2 shown]
	global_wb scope:SCOPE_SE
	s_wait_dscnt 0x0
	s_barrier_signal -1
	s_barrier_wait -1
	global_inv scope:SCOPE_SE
	ds_load_2addr_b32 v[86:87], v185 offset0:87 offset1:136
	ds_load_2addr_b32 v[84:85], v67 offset0:125 offset1:174
	;; [unrolled: 1-line block ×21, first 2 shown]
	ds_load_b32 v193, v184
	ds_load_b32 v194, v188
	;; [unrolled: 1-line block ×7, first 2 shown]
	global_wb scope:SCOPE_SE
	s_wait_dscnt 0x0
	s_barrier_signal -1
	s_barrier_wait -1
	global_inv scope:SCOPE_SE
	ds_store_2addr_b32 v184, v0, v1 offset1:49
	ds_store_2addr_b32 v184, v2, v3 offset0:98 offset1:147
	ds_store_2addr_b32 v184, v4, v5 offset0:196 offset1:245
	;; [unrolled: 1-line block ×21, first 2 shown]
	ds_store_b32 v26, v50 offset:3920
	ds_store_b32 v27, v136 offset:5292
	;; [unrolled: 1-line block ×5, first 2 shown]
	global_wb scope:SCOPE_SE
	s_wait_dscnt 0x0
	s_barrier_signal -1
	s_barrier_wait -1
	global_inv scope:SCOPE_SE
	s_and_saveexec_b32 s0, vcc_lo
	s_cbranch_execz .LBB0_15
; %bb.14:
	v_mul_i32_i24_e32 v32, 6, v108
	v_mul_i32_i24_e32 v4, 0xffffffe8, v108
	v_mov_b32_e32 v33, 0
	v_add_co_u32 v132, s0, s4, v56
	s_wait_alu 0xf1fe
	v_add_co_ci_u32_e64 v133, null, s5, 0, s0
	v_add_nc_u32_e32 v4, v65, v4
	v_lshlrev_b64_e32 v[0:1], 3, v[32:33]
	v_mul_i32_i24_e32 v32, 6, v111
	s_delay_alu instid0(VALU_DEP_2) | instskip(SKIP_1) | instid1(VALU_DEP_3)
	v_add_co_u32 v0, vcc_lo, s4, v0
	s_wait_alu 0xfffd
	v_add_co_ci_u32_e32 v1, vcc_lo, s5, v1, vcc_lo
	s_clause 0x2
	global_load_b128 v[12:15], v[0:1], off offset:2704
	global_load_b128 v[8:11], v[0:1], off offset:2720
	global_load_b128 v[28:31], v[0:1], off offset:2688
	v_lshlrev_b64_e32 v[0:1], 3, v[32:33]
	v_mul_i32_i24_e32 v32, 6, v110
	s_delay_alu instid0(VALU_DEP_2) | instskip(SKIP_1) | instid1(VALU_DEP_3)
	v_add_co_u32 v0, vcc_lo, s4, v0
	s_wait_alu 0xfffd
	v_add_co_ci_u32_e32 v1, vcc_lo, s5, v1, vcc_lo
	s_clause 0x2
	global_load_b128 v[24:27], v[0:1], off offset:2704
	global_load_b128 v[20:23], v[0:1], off offset:2720
	global_load_b128 v[16:19], v[0:1], off offset:2688
	;; [unrolled: 10-line block ×3, first 2 shown]
	v_lshlrev_b64_e32 v[0:1], 3, v[32:33]
	v_mul_i32_i24_e32 v32, 6, v128
	s_delay_alu instid0(VALU_DEP_2) | instskip(SKIP_1) | instid1(VALU_DEP_3)
	v_add_co_u32 v34, vcc_lo, s4, v0
	s_wait_alu 0xfffd
	v_add_co_ci_u32_e32 v35, vcc_lo, s5, v1, vcc_lo
	s_delay_alu instid0(VALU_DEP_3)
	v_lshlrev_b64_e32 v[36:37], 3, v[32:33]
	v_mul_i32_i24_e32 v32, 6, v183
	global_load_b128 v[0:3], v[34:35], off offset:2704
	ds_load_2addr_b32 v[110:111], v67 offset0:125 offset1:174
	ds_load_2addr_b32 v[148:149], v71 offset0:127 offset1:176
	;; [unrolled: 1-line block ×15, first 2 shown]
	v_lshlrev_b64_e32 v[32:33], 3, v[32:33]
	v_add_co_u32 v36, vcc_lo, s4, v36
	s_wait_alu 0xfffd
	v_add_co_ci_u32_e32 v37, vcc_lo, s5, v37, vcc_lo
	ds_load_b32 v200, v64
	ds_load_b32 v201, v63
	;; [unrolled: 1-line block ×4, first 2 shown]
	v_add_co_u32 v38, vcc_lo, s4, v32
	s_clause 0x1
	global_load_b128 v[4:7], v[132:133], off offset:2720
	global_load_b128 v[68:71], v[34:35], off offset:2688
	s_wait_alu 0xfffd
	v_add_co_ci_u32_e32 v39, vcc_lo, s5, v33, vcc_lo
	s_clause 0x6
	global_load_b128 v[72:75], v[34:35], off offset:2720
	global_load_b128 v[56:59], v[36:37], off offset:2688
	;; [unrolled: 1-line block ×7, first 2 shown]
	s_wait_loadcnt_dscnt 0x120f
	v_dual_mul_f32 v203, v15, v151 :: v_dual_mul_f32 v204, v13, v108
	s_wait_loadcnt_dscnt 0x110d
	v_dual_mul_f32 v13, v82, v13 :: v_dual_mul_f32 v206, v9, v112
	v_mul_f32_e32 v15, v125, v15
	v_mul_f32_e32 v9, v88, v9
	v_dual_fmac_f32 v203, v125, v14 :: v_dual_fmac_f32 v204, v82, v12
	s_delay_alu instid0(VALU_DEP_4) | instskip(NEXT) | instid1(VALU_DEP_4)
	v_fma_f32 v12, v12, v108, -v13
	v_fma_f32 v13, v14, v151, -v15
	s_wait_loadcnt 0x10
	v_dual_mul_f32 v14, v31, v147 :: v_dual_mul_f32 v15, v84, v29
	v_dual_mul_f32 v205, v11, v149 :: v_dual_fmac_f32 v206, v88, v8
	s_delay_alu instid0(VALU_DEP_2) | instskip(SKIP_1) | instid1(VALU_DEP_4)
	v_dual_mul_f32 v11, v123, v11 :: v_dual_fmac_f32 v14, v121, v30
	v_fma_f32 v8, v8, v112, -v9
	v_fma_f32 v9, v28, v110, -v15
	s_wait_loadcnt_dscnt 0xe0a
	v_dual_mul_f32 v15, v27, v150 :: v_dual_mul_f32 v82, v21, v145
	v_mul_f32_e32 v207, v29, v110
	v_fmac_f32_e32 v205, v123, v10
	v_fma_f32 v10, v10, v149, -v11
	s_delay_alu instid0(VALU_DEP_4) | instskip(NEXT) | instid1(VALU_DEP_4)
	v_dual_fmac_f32 v15, v124, v26 :: v_dual_fmac_f32 v82, v119, v20
	v_dual_fmac_f32 v207, v84, v28 :: v_dual_sub_f32 v84, v14, v206
	v_mul_f32_e32 v29, v121, v31
	s_wait_loadcnt 0xd
	v_mul_f32_e32 v31, v19, v146
	s_wait_loadcnt 0xb
	v_mul_f32_e32 v88, v49, v142
	v_mul_f32_e32 v28, v25, v143
	;; [unrolled: 1-line block ×3, first 2 shown]
	v_fma_f32 v11, v30, v147, -v29
	v_dual_mul_f32 v29, v23, v148 :: v_dual_mul_f32 v30, v17, v141
	v_dual_mul_f32 v23, v122, v23 :: v_dual_add_f32 v108, v9, v10
	v_dual_mul_f32 v17, v115, v17 :: v_dual_fmac_f32 v88, v116, v48
	s_delay_alu instid0(VALU_DEP_4) | instskip(NEXT) | instid1(VALU_DEP_4)
	v_dual_mul_f32 v19, v120, v19 :: v_dual_add_f32 v110, v11, v8
	v_dual_fmac_f32 v29, v122, v22 :: v_dual_sub_f32 v8, v11, v8
	s_delay_alu instid0(VALU_DEP_4)
	v_fma_f32 v22, v22, v148, -v23
	v_fmac_f32_e32 v30, v115, v16
	v_fma_f32 v16, v16, v141, -v17
	v_fma_f32 v17, v18, v146, -v19
	v_sub_f32_e32 v9, v9, v10
	v_dual_add_f32 v10, v13, v12 :: v_dual_fmac_f32 v31, v120, v18
	s_wait_loadcnt_dscnt 0xa07
	v_mul_f32_e32 v112, v47, v127
	v_sub_f32_e32 v18, v207, v205
	v_sub_f32_e32 v19, v203, v204
	v_mul_f32_e32 v21, v119, v21
	v_dual_mul_f32 v49, v116, v49 :: v_dual_sub_f32 v12, v13, v12
	v_mul_f32_e32 v13, v51, v139
	v_mul_f32_e32 v51, v107, v51
	v_dual_mul_f32 v25, v117, v25 :: v_dual_add_f32 v14, v14, v206
	v_fmac_f32_e32 v28, v117, v24
	v_fma_f32 v26, v26, v150, -v27
	v_mul_f32_e32 v27, v55, v131
	v_mul_f32_e32 v55, v105, v55
	;; [unrolled: 1-line block ×3, first 2 shown]
	v_fma_f32 v48, v48, v142, -v49
	v_fmac_f32_e32 v13, v107, v50
	v_fma_f32 v49, v50, v139, -v51
	v_sub_f32_e32 v50, v18, v19
	v_fma_f32 v20, v20, v145, -v21
	v_dual_mul_f32 v21, v53, v144 :: v_dual_fmac_f32 v112, v103, v46
	v_mul_f32_e32 v53, v118, v53
	v_fma_f32 v24, v24, v143, -v25
	v_add_f32_e32 v23, v207, v205
	v_mul_f32_e32 v45, v114, v45
	v_mul_f32_e32 v47, v103, v47
	s_wait_loadcnt_dscnt 0x905
	v_dual_fmac_f32 v21, v118, v52 :: v_dual_mul_f32 v118, v1, v137
	v_fmac_f32_e32 v27, v105, v54
	v_fma_f32 v54, v54, v131, -v55
	v_fma_f32 v52, v52, v144, -v53
	v_fmac_f32_e32 v11, v114, v44
	v_dual_add_f32 v55, v108, v110 :: v_dual_sub_f32 v114, v30, v29
	v_dual_sub_f32 v53, v108, v10 :: v_dual_sub_f32 v108, v110, v108
	v_add_f32_e32 v25, v203, v204
	v_sub_f32_e32 v51, v19, v84
	v_add_f32_e32 v19, v19, v84
	v_fma_f32 v44, v44, v140, -v45
	v_sub_f32_e32 v45, v10, v110
	v_fma_f32 v46, v46, v127, -v47
	v_sub_f32_e32 v103, v25, v14
	v_add_f32_e32 v105, v23, v14
	v_sub_f32_e32 v107, v9, v12
	v_sub_f32_e32 v110, v12, v8
	v_add_f32_e32 v12, v12, v8
	v_dual_sub_f32 v14, v14, v23 :: v_dual_sub_f32 v47, v23, v25
	v_sub_f32_e32 v23, v8, v9
	v_dual_add_f32 v8, v30, v29 :: v_dual_sub_f32 v29, v15, v28
	v_add_f32_e32 v15, v15, v28
	v_sub_f32_e32 v28, v31, v82
	v_add_f32_e32 v30, v31, v82
	v_add_f32_e32 v31, v16, v22
	v_sub_f32_e32 v16, v16, v22
	v_add_f32_e32 v22, v26, v24
	v_sub_f32_e32 v24, v26, v24
	v_sub_f32_e32 v122, v30, v8
	v_add_f32_e32 v26, v17, v20
	v_dual_sub_f32 v84, v84, v18 :: v_dual_sub_f32 v17, v17, v20
	v_add_f32_e32 v18, v18, v19
	v_mul_f32_e32 v20, 0x3d64c772, v45
	v_dual_add_f32 v10, v10, v55 :: v_dual_mul_f32 v55, 0x3f08b237, v110
	v_sub_f32_e32 v110, v11, v27
	v_sub_f32_e32 v117, v31, v22
	v_add_f32_e32 v119, v31, v26
	v_sub_f32_e32 v31, v26, v31
	v_dual_sub_f32 v26, v22, v26 :: v_dual_add_f32 v11, v11, v27
	v_sub_f32_e32 v27, v13, v88
	v_dual_add_f32 v13, v13, v88 :: v_dual_sub_f32 v88, v112, v21
	v_add_f32_e32 v21, v112, v21
	v_add_f32_e32 v112, v44, v54
	v_sub_f32_e32 v44, v44, v54
	v_add_f32_e32 v54, v49, v48
	v_sub_f32_e32 v48, v49, v48
	v_add_f32_e32 v49, v46, v52
	v_dual_sub_f32 v46, v46, v52 :: v_dual_mul_f32 v115, v101, v1
	v_dual_mul_f32 v1, 0x3f08b237, v51 :: v_dual_sub_f32 v124, v16, v24
	v_add_f32_e32 v25, v25, v105
	v_dual_mul_f32 v51, 0x3d64c772, v103 :: v_dual_sub_f32 v52, v114, v29
	v_sub_f32_e32 v116, v29, v28
	v_add_f32_e32 v29, v29, v28
	v_sub_f32_e32 v121, v28, v114
	v_add_f32_e32 v140, v48, v46
	v_sub_f32_e32 v141, v44, v48
	v_sub_f32_e32 v48, v48, v46
	;; [unrolled: 1-line block ×3, first 2 shown]
	v_dual_mul_f32 v103, 0xbf5ff5aa, v84 :: v_dual_sub_f32 v120, v8, v15
	v_dual_mul_f32 v45, 0x3f4a47b2, v47 :: v_dual_add_f32 v28, v8, v30
	v_mul_f32_e32 v82, v3, v138
	s_delay_alu instid0(VALU_DEP_3)
	v_fma_f32 v103, 0x3eae86e6, v50, -v103
	v_fmamk_f32 v50, v50, 0xbeae86e6, v1
	v_add_f32_e32 v8, v199, v25
	v_fma_f32 v1, 0xbf5ff5aa, v84, -v1
	v_dual_mul_f32 v3, v106, v3 :: v_dual_sub_f32 v30, v15, v30
	s_wait_dscnt 0x0
	v_dual_add_f32 v12, v9, v12 :: v_dual_add_f32 v9, v202, v10
	v_sub_f32_e32 v125, v112, v54
	v_fmac_f32_e32 v50, 0xbee1c552, v18
	v_fmac_f32_e32 v103, 0xbee1c552, v18
	;; [unrolled: 1-line block ×3, first 2 shown]
	v_dual_fmamk_f32 v18, v25, 0xbf955555, v8 :: v_dual_add_f32 v123, v24, v17
	v_fmamk_f32 v10, v10, 0xbf955555, v9
	v_sub_f32_e32 v24, v24, v17
	v_fma_f32 v45, 0xbf3bfb3b, v14, -v45
	v_fma_f32 v14, 0x3f3bfb3b, v14, -v51
	v_dual_add_f32 v127, v112, v49 :: v_dual_sub_f32 v112, v49, v112
	v_dual_mul_f32 v19, 0x3f4a47b2, v53 :: v_dual_add_f32 v22, v22, v119
	v_mul_f32_e32 v26, 0x3d64c772, v26
	v_dual_mul_f32 v30, 0x3d64c772, v30 :: v_dual_sub_f32 v119, v110, v27
	s_delay_alu instid0(VALU_DEP_3)
	v_fma_f32 v19, 0xbf3bfb3b, v108, -v19
	v_dual_add_f32 v14, v14, v18 :: v_dual_fmamk_f32 v53, v53, 0x3f4a47b2, v20
	v_fma_f32 v20, 0x3f3bfb3b, v108, -v20
	v_dual_mul_f32 v108, 0x3f4a47b2, v120 :: v_dual_add_f32 v139, v11, v21
	v_add_f32_e32 v15, v15, v28
	v_dual_sub_f32 v17, v17, v16 :: v_dual_add_f32 v16, v16, v123
	v_sub_f32_e32 v123, v27, v88
	v_dual_add_f32 v27, v27, v88 :: v_dual_add_f32 v20, v20, v10
	v_dual_sub_f32 v88, v88, v110 :: v_dual_fmamk_f32 v47, v47, 0x3f4a47b2, v51
	s_delay_alu instid0(VALU_DEP_2)
	v_dual_mul_f32 v24, 0x3f08b237, v24 :: v_dual_add_f32 v27, v110, v27
	v_add_f32_e32 v110, v13, v139
	v_add_f32_e32 v28, v198, v15
	v_mul_f32_e32 v105, 0xbf5ff5aa, v23
	v_fma_f32 v23, 0xbf5ff5aa, v23, -v55
	v_fmamk_f32 v25, v117, 0x3f4a47b2, v26
	v_fma_f32 v26, 0x3f3bfb3b, v31, -v26
	v_sub_f32_e32 v49, v54, v49
	v_fma_f32 v84, 0x3eae86e6, v107, -v105
	v_fmamk_f32 v105, v107, 0xbeae86e6, v55
	v_add_f32_e32 v51, v114, v29
	v_mul_f32_e32 v55, 0x3f08b237, v116
	v_mul_f32_e32 v107, 0x3f4a47b2, v117
	;; [unrolled: 1-line block ×4, first 2 shown]
	v_fmac_f32_e32 v84, 0xbee1c552, v12
	v_fmamk_f32 v117, v52, 0xbeae86e6, v55
	v_fma_f32 v107, 0xbf3bfb3b, v31, -v107
	v_fma_f32 v114, 0x3eae86e6, v52, -v114
	;; [unrolled: 1-line block ×4, first 2 shown]
	v_fmamk_f32 v116, v124, 0xbeae86e6, v24
	v_fma_f32 v121, 0xbf5ff5aa, v17, -v24
	v_fmamk_f32 v24, v120, 0x3f4a47b2, v30
	v_add_f32_e32 v120, v44, v140
	v_dual_mul_f32 v44, 0x3f08b237, v48 :: v_dual_sub_f32 v131, v11, v13
	v_dual_fmac_f32 v114, 0xbee1c552, v51 :: v_dual_add_f32 v29, v200, v22
	v_sub_f32_e32 v11, v21, v11
	v_dual_sub_f32 v21, v13, v21 :: v_dual_add_f32 v54, v54, v127
	v_add_f32_e32 v52, v197, v110
	v_fmamk_f32 v139, v141, 0xbeae86e6, v44
	v_fma_f32 v140, 0xbf5ff5aa, v46, -v44
	v_fmamk_f32 v44, v15, 0xbf955555, v28
	v_fma_f32 v108, 0xbf3bfb3b, v122, -v108
	v_fma_f32 v30, 0x3f3bfb3b, v122, -v30
	v_mul_f32_e32 v48, 0xbf5ff5aa, v88
	v_dual_mul_f32 v13, 0x3f4a47b2, v125 :: v_dual_mul_f32 v122, 0x3f4a47b2, v131
	v_add_f32_e32 v47, v47, v18
	v_dual_add_f32 v18, v45, v18 :: v_dual_fmac_f32 v23, 0xbee1c552, v12
	v_fmac_f32_e32 v105, 0xbee1c552, v12
	v_mul_f32_e32 v12, 0x3f08b237, v123
	v_mul_f32_e32 v17, 0x3d64c772, v49
	v_dual_add_f32 v123, v53, v10 :: v_dual_fmac_f32 v116, 0xbee1c552, v16
	v_fmac_f32_e32 v121, 0xbee1c552, v16
	v_mul_f32_e32 v49, 0xbf5ff5aa, v46
	v_dual_mul_f32 v21, 0x3d64c772, v21 :: v_dual_add_f32 v46, v24, v44
	v_fmac_f32_e32 v55, 0xbee1c552, v16
	v_add_f32_e32 v53, v201, v54
	v_dual_fmac_f32 v117, 0xbee1c552, v51 :: v_dual_fmac_f32 v140, 0xbee1c552, v120
	v_fmac_f32_e32 v31, 0xbee1c552, v51
	v_fma_f32 v124, 0xbf3bfb3b, v112, -v13
	v_fma_f32 v112, 0x3f3bfb3b, v112, -v17
	v_fmamk_f32 v51, v125, 0x3f4a47b2, v17
	v_fma_f32 v125, 0x3eae86e6, v119, -v48
	v_fma_f32 v88, 0xbf5ff5aa, v88, -v12
	v_add_f32_e32 v19, v19, v10
	v_fma_f32 v127, 0x3eae86e6, v141, -v49
	v_fmamk_f32 v48, v131, 0x3f4a47b2, v21
	v_fmamk_f32 v22, v22, 0xbf955555, v29
	v_fmac_f32_e32 v88, 0xbee1c552, v27
	v_fma_f32 v49, 0xbf3bfb3b, v11, -v122
	v_fma_f32 v122, 0x3f3bfb3b, v11, -v21
	v_add_f32_e32 v13, v50, v123
	v_dual_sub_f32 v21, v123, v50 :: v_dual_fmamk_f32 v50, v54, 0xbf955555, v53
	v_fmamk_f32 v54, v110, 0xbf955555, v52
	v_fmamk_f32 v119, v119, 0xbeae86e6, v12
	v_add_f32_e32 v10, v23, v14
	v_sub_f32_e32 v16, v14, v23
	v_dual_add_f32 v15, v103, v19 :: v_dual_fmac_f32 v82, v106, v2
	v_dual_sub_f32 v14, v18, v84 :: v_dual_sub_f32 v11, v20, v1
	v_dual_sub_f32 v19, v19, v103 :: v_dual_fmac_f32 v118, v101, v0
	v_add_f32_e32 v18, v84, v18
	v_sub_f32_e32 v12, v47, v105
	v_add_f32_e32 v23, v107, v22
	v_dual_add_f32 v84, v51, v50 :: v_dual_fmac_f32 v139, 0xbee1c552, v120
	v_add_f32_e32 v103, v48, v54
	v_add_f32_e32 v17, v1, v20
	;; [unrolled: 1-line block ×4, first 2 shown]
	v_dual_add_f32 v22, v26, v22 :: v_dual_add_f32 v47, v108, v44
	v_add_f32_e32 v26, v30, v44
	v_dual_add_f32 v110, v49, v54 :: v_dual_fmac_f32 v127, 0xbee1c552, v120
	s_delay_alu instid0(VALU_DEP_3) | instskip(SKIP_1) | instid1(VALU_DEP_4)
	v_sub_f32_e32 v25, v22, v31
	v_add_f32_e32 v31, v31, v22
	v_add_f32_e32 v24, v121, v26
	v_sub_f32_e32 v30, v26, v121
	v_sub_f32_e32 v22, v46, v116
	v_add_f32_e32 v46, v116, v46
	s_wait_loadcnt 0x6
	v_mul_f32_e32 v120, v75, v130
	v_sub_f32_e32 v26, v47, v55
	v_dual_add_f32 v44, v55, v47 :: v_dual_add_f32 v55, v124, v50
	v_dual_add_f32 v50, v112, v50 :: v_dual_fmac_f32 v119, 0xbee1c552, v27
	v_add_f32_e32 v54, v122, v54
	v_fma_f32 v101, v0, v137, -v115
	v_fma_f32 v112, v2, v138, -v3
	s_delay_alu instid0(VALU_DEP_4)
	v_sub_f32_e32 v3, v50, v88
	v_add_f32_e32 v51, v88, v50
	v_mul_f32_e32 v88, v71, v126
	v_mul_f32_e32 v0, v104, v75
	v_dual_fmac_f32 v120, v104, v74 :: v_dual_mul_f32 v75, v73, v135
	v_dual_mul_f32 v104, v69, v129 :: v_dual_fmac_f32 v125, 0xbee1c552, v27
	s_delay_alu instid0(VALU_DEP_4) | instskip(SKIP_1) | instid1(VALU_DEP_3)
	v_fmac_f32_e32 v88, v102, v70
	v_dual_add_f32 v27, v114, v23 :: v_dual_add_f32 v2, v140, v54
	v_fmac_f32_e32 v104, v97, v68
	v_sub_f32_e32 v50, v54, v140
	v_dual_mul_f32 v54, v99, v73 :: v_dual_sub_f32 v73, v82, v118
	v_mul_f32_e32 v71, v102, v71
	v_dual_add_f32 v82, v82, v118 :: v_dual_fmac_f32 v75, v99, v72
	s_delay_alu instid0(VALU_DEP_3) | instskip(SKIP_1) | instid1(VALU_DEP_4)
	v_fma_f32 v72, v72, v135, -v54
	v_fma_f32 v74, v74, v130, -v0
	;; [unrolled: 1-line block ×3, first 2 shown]
	v_mul_f32_e32 v69, v97, v69
	v_sub_f32_e32 v99, v88, v75
	v_dual_sub_f32 v0, v110, v127 :: v_dual_sub_f32 v97, v104, v120
	v_add_f32_e32 v54, v127, v110
	v_dual_add_f32 v122, v70, v72 :: v_dual_add_f32 v75, v88, v75
	v_dual_add_f32 v88, v104, v120 :: v_dual_sub_f32 v45, v23, v114
	v_sub_f32_e32 v102, v73, v99
	v_dual_add_f32 v23, v117, v1 :: v_dual_sub_f32 v70, v70, v72
	v_fma_f32 v110, v68, v129, -v69
	v_add_f32_e32 v68, v73, v99
	v_dual_sub_f32 v48, v103, v139 :: v_dual_sub_f32 v121, v97, v73
	v_add_f32_e32 v73, v112, v101
	v_dual_sub_f32 v47, v1, v117 :: v_dual_mul_f32 v102, 0x3f08b237, v102
	s_delay_alu instid0(VALU_DEP_4)
	v_add_f32_e32 v124, v97, v68
	v_add_f32_e32 v68, v139, v103
	v_sub_f32_e32 v103, v82, v75
	v_sub_f32_e32 v123, v73, v122
	s_clause 0x1
	global_load_b128 v[105:108], v[132:133], off offset:2688
	global_load_b128 v[114:117], v[132:133], off offset:2704
	v_sub_f32_e32 v69, v84, v119
	v_add_f32_e32 v120, v88, v75
	v_dual_mul_f32 v72, 0x3d64c772, v103 :: v_dual_add_f32 v71, v110, v74
	v_dual_sub_f32 v74, v110, v74 :: v_dual_add_f32 v49, v119, v84
	v_fmamk_f32 v84, v121, 0xbeae86e6, v102
	v_mul_f32_e32 v123, 0x3d64c772, v123
	s_delay_alu instid0(VALU_DEP_4) | instskip(SKIP_1) | instid1(VALU_DEP_4)
	v_sub_f32_e32 v119, v71, v73
	v_add_f32_e32 v1, v125, v55
	v_dual_sub_f32 v55, v55, v125 :: v_dual_fmac_f32 v84, 0xbee1c552, v124
	s_wait_loadcnt 0x6
	s_delay_alu instid0(VALU_DEP_3) | instskip(SKIP_2) | instid1(VALU_DEP_2)
	v_dual_mul_f32 v135, v61, v134 :: v_dual_mul_f32 v126, 0x3f4a47b2, v119
	v_dual_fmamk_f32 v118, v119, 0x3f4a47b2, v123 :: v_dual_sub_f32 v119, v88, v82
	v_sub_f32_e32 v101, v112, v101
	v_dual_mul_f32 v61, v98, v61 :: v_dual_fmamk_f32 v110, v119, 0x3f4a47b2, v72
	v_dual_add_f32 v125, v71, v122 :: v_dual_sub_f32 v122, v122, v71
	s_delay_alu instid0(VALU_DEP_1) | instskip(NEXT) | instid1(VALU_DEP_2)
	v_add_f32_e32 v73, v73, v125
	v_fma_f32 v71, 0xbf3bfb3b, v122, -v126
	ds_load_b32 v125, v192
	v_add_f32_e32 v104, v183, v73
	v_sub_f32_e32 v97, v99, v97
	s_delay_alu instid0(VALU_DEP_2) | instskip(SKIP_1) | instid1(VALU_DEP_3)
	v_dual_sub_f32 v99, v74, v101 :: v_dual_fmamk_f32 v112, v73, 0xbf955555, v104
	v_dual_add_f32 v73, v82, v120 :: v_dual_sub_f32 v82, v101, v70
	v_dual_add_f32 v101, v101, v70 :: v_dual_mul_f32 v120, 0xbf5ff5aa, v97
	s_delay_alu instid0(VALU_DEP_3) | instskip(NEXT) | instid1(VALU_DEP_2)
	v_add_f32_e32 v126, v118, v112
	v_dual_mul_f32 v82, 0x3f08b237, v82 :: v_dual_add_f32 v101, v74, v101
	v_sub_f32_e32 v74, v70, v74
	s_delay_alu instid0(VALU_DEP_4) | instskip(SKIP_1) | instid1(VALU_DEP_4)
	v_fma_f32 v130, 0x3eae86e6, v121, -v120
	v_fma_f32 v133, 0x3f3bfb3b, v122, -v123
	v_fmamk_f32 v129, v99, 0xbeae86e6, v82
	s_delay_alu instid0(VALU_DEP_4) | instskip(NEXT) | instid1(VALU_DEP_4)
	v_fma_f32 v82, 0xbf5ff5aa, v74, -v82
	v_fmac_f32_e32 v130, 0xbee1c552, v124
	v_dual_sub_f32 v75, v75, v88 :: v_dual_mul_f32 v88, 0xbf5ff5aa, v74
	s_delay_alu instid0(VALU_DEP_3) | instskip(SKIP_1) | instid1(VALU_DEP_3)
	v_fmac_f32_e32 v82, 0xbee1c552, v101
	v_add_f32_e32 v103, v196, v73
	v_fma_f32 v72, 0x3f3bfb3b, v75, -v72
	s_delay_alu instid0(VALU_DEP_4) | instskip(SKIP_3) | instid1(VALU_DEP_1)
	v_fma_f32 v88, 0x3eae86e6, v99, -v88
	v_add_f32_e32 v131, v71, v112
	v_add_f32_e32 v99, v133, v112
	v_fmamk_f32 v127, v73, 0xbf955555, v103
	v_add_f32_e32 v72, v72, v127
	v_fma_f32 v97, 0xbf5ff5aa, v97, -v102
	s_delay_alu instid0(VALU_DEP_2) | instskip(NEXT) | instid1(VALU_DEP_2)
	v_add_f32_e32 v74, v82, v72
	v_fmac_f32_e32 v97, 0xbee1c552, v124
	v_dual_mul_f32 v124, v57, v128 :: v_dual_mul_f32 v57, v96, v57
	s_delay_alu instid0(VALU_DEP_2) | instskip(NEXT) | instid1(VALU_DEP_2)
	v_dual_add_f32 v102, v97, v99 :: v_dual_fmac_f32 v129, 0xbee1c552, v101
	v_fmac_f32_e32 v124, v96, v56
	v_add_f32_e32 v110, v110, v127
	s_delay_alu instid0(VALU_DEP_1)
	v_sub_f32_e32 v70, v110, v129
	v_mul_f32_e32 v132, 0x3f4a47b2, v119
	ds_load_2addr_b32 v[118:119], v191 offset0:59 offset1:108
	ds_load_2addr_b32 v[120:121], v189 offset0:141 offset1:190
	;; [unrolled: 1-line block ×3, first 2 shown]
	v_fma_f32 v132, 0xbf3bfb3b, v75, -v132
	s_delay_alu instid0(VALU_DEP_1) | instskip(SKIP_3) | instid1(VALU_DEP_2)
	v_add_f32_e32 v112, v132, v127
	s_wait_loadcnt 0x5
	v_mul_f32_e32 v132, v65, v136
	v_fmac_f32_e32 v88, 0xbee1c552, v101
	v_fmac_f32_e32 v132, v100, v64
	;; [unrolled: 1-line block ×3, first 2 shown]
	v_fma_f32 v60, v60, v134, -v61
	v_fma_f32 v61, v56, v128, -v57
	s_wait_dscnt 0x0
	v_mul_f32_e32 v133, v59, v123
	v_mul_f32_e32 v59, v93, v59
	s_delay_alu instid0(VALU_DEP_2) | instskip(SKIP_1) | instid1(VALU_DEP_3)
	v_fmac_f32_e32 v133, v93, v58
	v_add_f32_e32 v71, v84, v126
	v_fma_f32 v58, v58, v123, -v59
	v_dual_mul_f32 v65, v100, v65 :: v_dual_sub_f32 v100, v131, v130
	s_delay_alu instid0(VALU_DEP_4) | instskip(SKIP_1) | instid1(VALU_DEP_3)
	v_dual_sub_f32 v138, v133, v135 :: v_dual_mul_f32 v127, v67, v121
	v_sub_f32_e32 v75, v99, v97
	v_fma_f32 v64, v64, v136, -v65
	v_mul_f32_e32 v65, v91, v67
	v_add_f32_e32 v99, v88, v112
	v_fmac_f32_e32 v127, v91, v66
	v_add_f32_e32 v67, v58, v60
	v_sub_f32_e32 v58, v58, v60
	v_fma_f32 v66, v66, v121, -v65
	v_sub_f32_e32 v101, v72, v82
	v_sub_f32_e32 v137, v127, v132
	;; [unrolled: 1-line block ×3, first 2 shown]
	s_delay_alu instid0(VALU_DEP_2) | instskip(SKIP_1) | instid1(VALU_DEP_1)
	v_dual_sub_f32 v112, v137, v138 :: v_dual_mul_f32 v97, v63, v119
	v_mul_f32_e32 v63, v95, v63
	v_fma_f32 v59, v62, v119, -v63
	v_add_f32_e32 v63, v66, v64
	s_delay_alu instid0(VALU_DEP_2) | instskip(NEXT) | instid1(VALU_DEP_2)
	v_dual_sub_f32 v66, v66, v64 :: v_dual_add_f32 v91, v61, v59
	v_sub_f32_e32 v65, v63, v67
	v_fmac_f32_e32 v97, v95, v62
	v_sub_f32_e32 v61, v61, v59
	s_delay_alu instid0(VALU_DEP_4) | instskip(NEXT) | instid1(VALU_DEP_4)
	v_dual_sub_f32 v59, v66, v58 :: v_dual_mul_f32 v62, 0x3f08b237, v112
	v_dual_mul_f32 v98, 0x3d64c772, v65 :: v_dual_add_f32 v73, v130, v131
	s_delay_alu instid0(VALU_DEP_4) | instskip(NEXT) | instid1(VALU_DEP_3)
	v_sub_f32_e32 v82, v124, v97
	v_mul_f32_e32 v128, 0x3f08b237, v59
	v_add_f32_e32 v56, v137, v138
	v_dual_sub_f32 v96, v91, v63 :: v_dual_add_f32 v59, v66, v58
	s_delay_alu instid0(VALU_DEP_4)
	v_sub_f32_e32 v88, v82, v137
	ds_load_b32 v112, v188
	v_add_f32_e32 v93, v82, v56
	v_sub_f32_e32 v82, v138, v82
	v_dual_sub_f32 v57, v126, v84 :: v_dual_fmamk_f32 v84, v88, 0xbeae86e6, v62
	v_add_f32_e32 v56, v129, v110
	v_fmamk_f32 v110, v96, 0x3f4a47b2, v98
	s_delay_alu instid0(VALU_DEP_4) | instskip(SKIP_3) | instid1(VALU_DEP_3)
	v_mul_f32_e32 v123, 0xbf5ff5aa, v82
	v_fma_f32 v82, 0xbf5ff5aa, v82, -v62
	v_dual_add_f32 v95, v91, v67 :: v_dual_fmac_f32 v84, 0xbee1c552, v93
	v_add_f32_e32 v119, v127, v132
	v_dual_sub_f32 v127, v61, v66 :: v_dual_fmac_f32 v82, 0xbee1c552, v93
	s_delay_alu instid0(VALU_DEP_3) | instskip(SKIP_3) | instid1(VALU_DEP_4)
	v_add_f32_e32 v63, v63, v95
	v_add_f32_e32 v130, v61, v59
	v_fma_f32 v88, 0x3eae86e6, v88, -v123
	v_sub_f32_e32 v61, v58, v61
	v_add_f32_e32 v65, v125, v63
	ds_load_2addr_b32 v[125:126], v187 offset0:179 offset1:228
	v_fmamk_f32 v129, v127, 0xbeae86e6, v128
	v_fmac_f32_e32 v88, 0xbee1c552, v93
	v_fma_f32 v93, 0xbf5ff5aa, v61, -v128
	s_delay_alu instid0(VALU_DEP_1) | instskip(SKIP_4) | instid1(VALU_DEP_3)
	v_fmac_f32_e32 v93, 0xbee1c552, v130
	s_wait_loadcnt_dscnt 0x400
	v_mul_f32_e32 v132, v33, v126
	v_fmac_f32_e32 v129, 0xbee1c552, v130
	v_mul_f32_e32 v33, v79, v33
	v_fmac_f32_e32 v132, v79, v32
	v_dual_fmamk_f32 v60, v63, 0xbf955555, v65 :: v_dual_add_f32 v95, v124, v97
	v_add_f32_e32 v97, v133, v135
	v_dual_mul_f32 v133, v35, v118 :: v_dual_mul_f32 v124, 0x3f4a47b2, v96
	s_delay_alu instid0(VALU_DEP_2) | instskip(SKIP_1) | instid1(VALU_DEP_3)
	v_dual_add_f32 v110, v110, v60 :: v_dual_add_f32 v121, v95, v97
	v_sub_f32_e32 v63, v119, v97
	v_fmac_f32_e32 v133, v94, v34
	s_delay_alu instid0(VALU_DEP_3) | instskip(SKIP_1) | instid1(VALU_DEP_2)
	v_add_f32_e32 v121, v119, v121
	v_sub_f32_e32 v119, v95, v119
	v_dual_mul_f32 v63, 0x3d64c772, v63 :: v_dual_add_f32 v64, v195, v121
	s_delay_alu instid0(VALU_DEP_1) | instskip(NEXT) | instid1(VALU_DEP_2)
	v_fmamk_f32 v66, v119, 0x3f4a47b2, v63
	v_fmamk_f32 v121, v121, 0xbf955555, v64
	s_delay_alu instid0(VALU_DEP_1) | instskip(NEXT) | instid1(VALU_DEP_1)
	v_dual_add_f32 v131, v66, v121 :: v_dual_mul_f32 v66, 0x3f4a47b2, v119
	v_sub_f32_e32 v58, v131, v129
	v_sub_f32_e32 v67, v67, v91
	;; [unrolled: 1-line block ×3, first 2 shown]
	v_mul_f32_e32 v95, 0xbf5ff5aa, v61
	ds_load_2addr_b32 v[96:97], v185 offset0:87 offset1:136
	v_fma_f32 v119, 0xbf3bfb3b, v67, -v124
	ds_load_2addr_b32 v[123:124], v186 offset0:5 offset1:54
	v_fma_f32 v127, 0x3eae86e6, v127, -v95
	v_fma_f32 v66, 0xbf3bfb3b, v91, -v66
	;; [unrolled: 1-line block ×4, first 2 shown]
	v_add_f32_e32 v95, v119, v60
	v_fmac_f32_e32 v127, 0xbee1c552, v130
	s_wait_loadcnt 0x3
	v_mul_f32_e32 v130, v43, v122
	v_add_f32_e32 v98, v66, v121
	v_dual_add_f32 v66, v67, v60 :: v_dual_add_f32 v61, v88, v95
	s_delay_alu instid0(VALU_DEP_3) | instskip(NEXT) | instid1(VALU_DEP_2)
	v_dual_sub_f32 v95, v95, v88 :: v_dual_fmac_f32 v130, v92, v42
	v_sub_f32_e32 v63, v66, v82
	s_delay_alu instid0(VALU_DEP_2)
	v_sub_f32_e32 v135, v130, v132
	v_dual_mul_f32 v35, v94, v35 :: v_dual_add_f32 v94, v127, v98
	v_add_f32_e32 v91, v62, v121
	s_wait_loadcnt 0x2
	v_mul_f32_e32 v121, v39, v120
	s_wait_dscnt 0x0
	v_mul_f32_e32 v128, v37, v124
	v_mul_f32_e32 v119, v41, v97
	;; [unrolled: 1-line block ×3, first 2 shown]
	s_delay_alu instid0(VALU_DEP_3) | instskip(NEXT) | instid1(VALU_DEP_3)
	v_dual_fmac_f32 v121, v90, v38 :: v_dual_fmac_f32 v128, v81, v36
	v_fmac_f32_e32 v119, v87, v40
	s_delay_alu instid0(VALU_DEP_3) | instskip(NEXT) | instid1(VALU_DEP_3)
	v_fma_f32 v40, v40, v97, -v41
	v_sub_f32_e32 v134, v121, v128
	s_delay_alu instid0(VALU_DEP_1) | instskip(NEXT) | instid1(VALU_DEP_1)
	v_sub_f32_e32 v88, v134, v135
	v_mul_f32_e32 v87, 0x3f08b237, v88
	v_fma_f32 v88, v34, v118, -v35
	v_dual_mul_f32 v34, v92, v43 :: v_dual_mul_f32 v35, v81, v37
	v_mul_f32_e32 v37, v90, v39
	v_fma_f32 v39, v32, v126, -v33
	v_add_f32_e32 v92, v130, v132
	s_delay_alu instid0(VALU_DEP_4) | instskip(SKIP_3) | instid1(VALU_DEP_4)
	v_fma_f32 v34, v42, v122, -v34
	v_fma_f32 v36, v36, v124, -v35
	;; [unrolled: 1-line block ×3, first 2 shown]
	v_add_f32_e32 v38, v40, v88
	v_dual_sub_f32 v40, v40, v88 :: v_dual_add_f32 v41, v34, v39
	v_sub_f32_e32 v39, v34, v39
	s_delay_alu instid0(VALU_DEP_4) | instskip(SKIP_1) | instid1(VALU_DEP_4)
	v_add_f32_e32 v35, v37, v36
	v_dual_sub_f32 v36, v37, v36 :: v_dual_add_f32 v59, v84, v110
	v_dual_add_f32 v43, v38, v41 :: v_dual_add_f32 v62, v93, v91
	v_sub_f32_e32 v33, v110, v84
	s_delay_alu instid0(VALU_DEP_3) | instskip(NEXT) | instid1(VALU_DEP_3)
	v_sub_f32_e32 v37, v36, v39
	v_dual_sub_f32 v118, v40, v36 :: v_dual_add_f32 v43, v35, v43
	v_dual_add_f32 v97, v121, v128 :: v_dual_add_f32 v36, v36, v39
	v_dual_add_f32 v90, v119, v133 :: v_dual_add_f32 v67, v82, v66
	v_sub_f32_e32 v66, v91, v93
	v_dual_sub_f32 v79, v35, v41 :: v_dual_sub_f32 v84, v38, v35
	ds_load_b32 v93, v184
	v_dual_add_f32 v35, v112, v43 :: v_dual_sub_f32 v112, v97, v92
	v_sub_f32_e32 v60, v98, v127
	v_add_f32_e32 v98, v90, v92
	v_dual_sub_f32 v39, v39, v40 :: v_dual_sub_f32 v38, v41, v38
	s_delay_alu instid0(VALU_DEP_4) | instskip(SKIP_1) | instid1(VALU_DEP_4)
	v_mul_f32_e32 v112, 0x3d64c772, v112
	v_add_f32_e32 v32, v134, v135
	v_dual_add_f32 v98, v97, v98 :: v_dual_sub_f32 v97, v90, v97
	s_delay_alu instid0(VALU_DEP_4) | instskip(NEXT) | instid1(VALU_DEP_2)
	v_dual_sub_f32 v41, v92, v90 :: v_dual_mul_f32 v92, 0xbf5ff5aa, v39
	v_dual_mul_f32 v79, 0x3d64c772, v79 :: v_dual_add_f32 v34, v194, v98
	s_delay_alu instid0(VALU_DEP_3)
	v_fmamk_f32 v88, v97, 0x3f4a47b2, v112
	v_mul_f32_e32 v110, 0x3f4a47b2, v84
	v_add_f32_e32 v36, v40, v36
	v_fma_f32 v92, 0x3eae86e6, v118, -v92
	v_fmamk_f32 v98, v98, 0xbf955555, v34
	v_fmamk_f32 v84, v84, 0x3f4a47b2, v79
	v_fma_f32 v40, 0xbf3bfb3b, v38, -v110
	v_fma_f32 v38, 0x3f3bfb3b, v38, -v79
	v_fmac_f32_e32 v92, 0xbee1c552, v36
	v_add_f32_e32 v88, v88, v98
	v_sub_f32_e32 v82, v119, v133
	v_mul_f32_e32 v119, 0x3f08b237, v37
	v_mul_f32_e32 v97, 0x3f4a47b2, v97
	s_delay_alu instid0(VALU_DEP_3) | instskip(SKIP_2) | instid1(VALU_DEP_1)
	v_sub_f32_e32 v91, v82, v134
	v_add_f32_e32 v42, v82, v32
	v_sub_f32_e32 v82, v135, v82
	v_dual_add_f32 v32, v129, v131 :: v_dual_mul_f32 v121, 0xbf5ff5aa, v82
	v_fma_f32 v79, 0xbf5ff5aa, v82, -v87
	v_fma_f32 v82, 0xbf5ff5aa, v39, -v119
	;; [unrolled: 1-line block ×3, first 2 shown]
	s_delay_alu instid0(VALU_DEP_4) | instskip(NEXT) | instid1(VALU_DEP_3)
	v_fma_f32 v90, 0x3eae86e6, v91, -v121
	v_dual_fmac_f32 v79, 0xbee1c552, v42 :: v_dual_fmac_f32 v82, 0xbee1c552, v36
	v_fmamk_f32 v81, v91, 0xbeae86e6, v87
	v_fma_f32 v91, 0xbf3bfb3b, v41, -v97
	s_delay_alu instid0(VALU_DEP_4) | instskip(NEXT) | instid1(VALU_DEP_3)
	v_fmac_f32_e32 v90, 0xbee1c552, v42
	v_fmac_f32_e32 v81, 0xbee1c552, v42
	s_delay_alu instid0(VALU_DEP_3) | instskip(SKIP_3) | instid1(VALU_DEP_1)
	v_add_f32_e32 v91, v91, v98
	v_add_f32_e32 v42, v39, v98
	s_wait_loadcnt 0x1
	v_dual_mul_f32 v98, v108, v111 :: v_dual_fmamk_f32 v43, v43, 0xbf955555, v35
	v_fmac_f32_e32 v98, v85, v107
	s_delay_alu instid0(VALU_DEP_2)
	v_add_f32_e32 v84, v84, v43
	v_add_f32_e32 v97, v40, v43
	;; [unrolled: 1-line block ×4, first 2 shown]
	v_sub_f32_e32 v42, v42, v82
	s_wait_loadcnt 0x0
	v_mul_f32_e32 v82, v117, v109
	v_add_f32_e32 v39, v90, v97
	v_sub_f32_e32 v41, v43, v79
	v_add_f32_e32 v43, v79, v43
	v_sub_f32_e32 v38, v91, v92
	v_dual_fmac_f32 v82, v83, v116 :: v_dual_sub_f32 v79, v97, v90
	v_dual_mul_f32 v90, v106, v96 :: v_dual_mul_f32 v97, v7, v113
	s_delay_alu instid0(VALU_DEP_1) | instskip(SKIP_1) | instid1(VALU_DEP_2)
	v_dual_mul_f32 v7, v89, v7 :: v_dual_fmac_f32 v90, v86, v105
	v_mul_f32_e32 v86, v86, v106
	v_fma_f32 v110, v6, v113, -v7
	v_mul_f32_e32 v7, v80, v115
	v_fmac_f32_e32 v97, v89, v6
	v_mul_f32_e32 v106, v5, v125
	v_dual_mul_f32 v5, v78, v5 :: v_dual_mul_f32 v6, v85, v108
	v_fma_f32 v85, v105, v96, -v86
	v_fma_f32 v86, v114, v123, -v7
	v_mul_f32_e32 v87, v115, v123
	s_delay_alu instid0(VALU_DEP_4)
	v_fma_f32 v5, v4, v125, -v5
	v_fmac_f32_e32 v106, v78, v4
	v_add_f32_e32 v4, v85, v110
	v_add_f32_e32 v78, v92, v91
	v_dual_fmac_f32 v87, v80, v114 :: v_dual_mul_f32 v80, v83, v117
	v_fma_f32 v83, v107, v111, -v6
	v_add_f32_e32 v37, v81, v84
	v_sub_f32_e32 v7, v84, v81
	v_sub_f32_e32 v85, v85, v110
	v_fma_f32 v80, v116, v109, -v80
	v_add_f32_e32 v96, v83, v5
	v_fmamk_f32 v120, v118, 0xbeae86e6, v119
	v_sub_f32_e32 v105, v98, v106
	s_delay_alu instid0(VALU_DEP_4) | instskip(NEXT) | instid1(VALU_DEP_4)
	v_dual_sub_f32 v5, v83, v5 :: v_dual_add_f32 v6, v80, v86
	v_add_f32_e32 v92, v4, v96
	v_dual_sub_f32 v86, v80, v86 :: v_dual_sub_f32 v89, v82, v87
	v_add_f32_e32 v82, v82, v87
	s_delay_alu instid0(VALU_DEP_4) | instskip(NEXT) | instid1(VALU_DEP_4)
	v_sub_f32_e32 v81, v6, v96
	v_add_f32_e32 v92, v6, v92
	v_fmac_f32_e32 v120, 0xbee1c552, v36
	v_sub_f32_e32 v108, v4, v6
	s_delay_alu instid0(VALU_DEP_4) | instskip(SKIP_4) | instid1(VALU_DEP_3)
	v_dual_sub_f32 v4, v96, v4 :: v_dual_mul_f32 v109, 0x3d64c772, v81
	s_wait_dscnt 0x0
	v_add_f32_e32 v81, v93, v92
	v_sub_f32_e32 v36, v88, v120
	v_add_f32_e32 v6, v120, v88
	v_dual_fmamk_f32 v92, v92, 0xbf955555, v81 :: v_dual_add_f32 v93, v98, v106
	v_sub_f32_e32 v106, v85, v86
	v_sub_f32_e32 v107, v89, v105
	s_delay_alu instid0(VALU_DEP_3) | instskip(NEXT) | instid1(VALU_DEP_1)
	v_sub_f32_e32 v80, v82, v93
	v_dual_mul_f32 v98, 0x3d64c772, v80 :: v_dual_sub_f32 v91, v90, v97
	v_dual_add_f32 v90, v90, v97 :: v_dual_mul_f32 v97, 0x3f4a47b2, v108
	s_delay_alu instid0(VALU_DEP_2) | instskip(SKIP_1) | instid1(VALU_DEP_1)
	v_sub_f32_e32 v84, v91, v89
	v_add_f32_e32 v89, v89, v105
	v_dual_add_f32 v88, v91, v89 :: v_dual_fmamk_f32 v89, v108, 0x3f4a47b2, v109
	v_sub_f32_e32 v91, v105, v91
	s_delay_alu instid0(VALU_DEP_2) | instskip(SKIP_3) | instid1(VALU_DEP_4)
	v_dual_add_f32 v108, v89, v92 :: v_dual_add_f32 v87, v90, v93
	v_sub_f32_e32 v89, v86, v5
	v_add_f32_e32 v86, v86, v5
	v_sub_f32_e32 v5, v5, v85
	v_add_f32_e32 v87, v82, v87
	s_delay_alu instid0(VALU_DEP_4) | instskip(NEXT) | instid1(VALU_DEP_4)
	v_dual_sub_f32 v82, v90, v82 :: v_dual_mul_f32 v89, 0x3f08b237, v89
	v_dual_add_f32 v113, v85, v86 :: v_dual_mul_f32 v86, 0xbf5ff5aa, v91
	s_delay_alu instid0(VALU_DEP_2) | instskip(NEXT) | instid1(VALU_DEP_3)
	v_dual_add_f32 v80, v193, v87 :: v_dual_fmamk_f32 v105, v82, 0x3f4a47b2, v98
	v_fmamk_f32 v112, v106, 0xbeae86e6, v89
	v_mul_f32_e32 v107, 0x3f08b237, v107
	v_mul_f32_e32 v85, 0xbf5ff5aa, v5
	s_delay_alu instid0(VALU_DEP_4) | instskip(SKIP_2) | instid1(VALU_DEP_4)
	v_fmamk_f32 v110, v87, 0xbf955555, v80
	v_mul_f32_e32 v87, 0x3f4a47b2, v82
	v_fmac_f32_e32 v112, 0xbee1c552, v113
	v_fma_f32 v115, 0x3eae86e6, v106, -v85
	s_delay_alu instid0(VALU_DEP_4) | instskip(SKIP_2) | instid1(VALU_DEP_4)
	v_add_f32_e32 v114, v105, v110
	v_fma_f32 v105, 0x3eae86e6, v84, -v86
	v_fma_f32 v86, 0xbf3bfb3b, v4, -v97
	v_fmac_f32_e32 v115, 0xbee1c552, v113
	v_fmamk_f32 v111, v84, 0xbeae86e6, v107
	s_delay_alu instid0(VALU_DEP_4) | instskip(NEXT) | instid1(VALU_DEP_4)
	v_fmac_f32_e32 v105, 0xbee1c552, v88
	v_add_f32_e32 v106, v86, v92
	v_fma_f32 v4, 0x3f3bfb3b, v4, -v109
	v_fma_f32 v109, 0xbf5ff5aa, v5, -v89
	s_delay_alu instid0(VALU_DEP_3) | instskip(NEXT) | instid1(VALU_DEP_3)
	v_dual_sub_f32 v82, v114, v112 :: v_dual_add_f32 v89, v105, v106
	v_add_f32_e32 v92, v4, v92
	v_sub_f32_e32 v84, v93, v90
	v_fma_f32 v93, 0xbf5ff5aa, v91, -v107
	v_fmac_f32_e32 v109, 0xbee1c552, v113
	v_sub_f32_e32 v106, v106, v105
	s_delay_alu instid0(VALU_DEP_4) | instskip(SKIP_3) | instid1(VALU_DEP_4)
	v_fma_f32 v87, 0xbf3bfb3b, v84, -v87
	v_fma_f32 v4, 0x3f3bfb3b, v84, -v98
	v_mad_co_u64_u32 v[84:85], null, s8, v180, 0
	v_fmac_f32_e32 v93, 0xbee1c552, v88
	v_add_f32_e32 v107, v87, v110
	v_mad_co_u64_u32 v[86:87], null, s8, v182, 0
	v_dual_add_f32 v110, v4, v110 :: v_dual_fmac_f32 v111, 0xbee1c552, v88
	v_mov_b32_e32 v4, v85
	s_delay_alu instid0(VALU_DEP_4) | instskip(NEXT) | instid1(VALU_DEP_3)
	v_dual_sub_f32 v88, v107, v115 :: v_dual_sub_f32 v91, v92, v93
	v_dual_add_f32 v90, v109, v110 :: v_dual_mov_b32 v5, v87
	s_delay_alu instid0(VALU_DEP_4) | instskip(SKIP_2) | instid1(VALU_DEP_4)
	v_add_f32_e32 v83, v111, v108
	v_dual_add_f32 v93, v93, v92 :: v_dual_sub_f32 v92, v110, v109
	v_add_f32_e32 v105, v115, v107
	v_mad_co_u64_u32 v[96:97], null, s9, v180, v[4:5]
	v_mad_co_u64_u32 v[4:5], null, s9, v182, v[5:6]
	;; [unrolled: 1-line block ×3, first 2 shown]
	v_sub_f32_e32 v108, v108, v111
	v_add_f32_e32 v107, v112, v114
	v_mov_b32_e32 v85, v96
	v_mad_co_u64_u32 v[109:110], null, s8, v178, 0
	v_dual_mov_b32 v87, v4 :: v_dual_mov_b32 v96, v98
	v_add_co_u32 v4, vcc_lo, s10, v76
	s_wait_alu 0xfffd
	v_add_co_ci_u32_e32 v5, vcc_lo, s11, v77, vcc_lo
	v_lshlrev_b64_e32 v[76:77], 3, v[84:85]
	v_lshlrev_b64_e32 v[84:85], 3, v[86:87]
	v_mad_co_u64_u32 v[86:87], null, s9, v181, v[96:97]
	v_mad_co_u64_u32 v[111:112], null, s8, v179, 0
	s_delay_alu instid0(VALU_DEP_4) | instskip(SKIP_2) | instid1(VALU_DEP_4)
	v_add_co_u32 v76, vcc_lo, v4, v76
	s_wait_alu 0xfffd
	v_add_co_ci_u32_e32 v77, vcc_lo, v5, v77, vcc_lo
	v_mov_b32_e32 v98, v86
	s_delay_alu instid0(VALU_DEP_4) | instskip(SKIP_3) | instid1(VALU_DEP_3)
	v_dual_mov_b32 v86, v110 :: v_dual_mov_b32 v87, v112
	v_add_co_u32 v84, vcc_lo, v4, v84
	s_wait_alu 0xfffd
	v_add_co_ci_u32_e32 v85, vcc_lo, v5, v85, vcc_lo
	v_mad_co_u64_u32 v[112:113], null, s9, v178, v[86:87]
	v_mad_co_u64_u32 v[113:114], null, s8, v177, 0
	;; [unrolled: 1-line block ×3, first 2 shown]
	v_lshlrev_b64_e32 v[96:97], 3, v[97:98]
	s_clause 0x1
	global_store_b64 v[76:77], v[80:81], off
	global_store_b64 v[84:85], v[107:108], off
	v_mov_b32_e32 v110, v112
	v_mad_co_u64_u32 v[84:85], null, s8, v176, 0
	v_mov_b32_e32 v76, v114
	v_mov_b32_e32 v112, v86
	v_add_co_u32 v96, vcc_lo, v4, v96
	v_lshlrev_b64_e32 v[80:81], 3, v[109:110]
	s_delay_alu instid0(VALU_DEP_4) | instskip(SKIP_3) | instid1(VALU_DEP_4)
	v_mad_co_u64_u32 v[76:77], null, s9, v177, v[76:77]
	s_wait_alu 0xfffd
	v_add_co_ci_u32_e32 v97, vcc_lo, v5, v97, vcc_lo
	v_lshlrev_b64_e32 v[86:87], 3, v[111:112]
	v_add_co_u32 v80, vcc_lo, v4, v80
	global_store_b64 v[96:97], v[105:106], off
	v_mov_b32_e32 v114, v76
	v_mad_co_u64_u32 v[76:77], null, s8, v173, 0
	v_mad_co_u64_u32 v[96:97], null, s8, v175, 0
	s_wait_alu 0xfffd
	v_add_co_ci_u32_e32 v81, vcc_lo, v5, v81, vcc_lo
	v_add_co_u32 v86, vcc_lo, v4, v86
	v_lshlrev_b64_e32 v[105:106], 3, v[113:114]
	s_wait_alu 0xfffd
	v_add_co_ci_u32_e32 v87, vcc_lo, v5, v87, vcc_lo
	s_delay_alu instid0(VALU_DEP_3)
	v_mad_co_u64_u32 v[107:108], null, s9, v176, v[85:86]
	v_mad_co_u64_u32 v[108:109], null, s9, v173, v[77:78]
	v_mov_b32_e32 v77, v97
	v_add_co_u32 v97, vcc_lo, v4, v105
	s_wait_alu 0xfffd
	v_add_co_ci_u32_e32 v98, vcc_lo, v5, v106, vcc_lo
	s_delay_alu instid0(VALU_DEP_3)
	v_mad_co_u64_u32 v[105:106], null, s9, v175, v[77:78]
	v_mov_b32_e32 v85, v107
	v_mad_co_u64_u32 v[106:107], null, s8, v174, 0
	s_clause 0x2
	global_store_b64 v[80:81], v[92:93], off
	global_store_b64 v[86:87], v[90:91], off
	;; [unrolled: 1-line block ×3, first 2 shown]
	v_mov_b32_e32 v77, v108
	v_mov_b32_e32 v97, v105
	v_lshlrev_b64_e32 v[80:81], 3, v[84:85]
	v_mov_b32_e32 v84, v107
	s_delay_alu instid0(VALU_DEP_4) | instskip(NEXT) | instid1(VALU_DEP_4)
	v_lshlrev_b64_e32 v[76:77], 3, v[76:77]
	v_lshlrev_b64_e32 v[85:86], 3, v[96:97]
	s_delay_alu instid0(VALU_DEP_4) | instskip(SKIP_2) | instid1(VALU_DEP_3)
	v_add_co_u32 v80, vcc_lo, v4, v80
	s_wait_alu 0xfffd
	v_add_co_ci_u32_e32 v81, vcc_lo, v5, v81, vcc_lo
	v_mad_co_u64_u32 v[87:88], null, s9, v174, v[84:85]
	v_add_co_u32 v76, vcc_lo, v4, v76
	v_mad_co_u64_u32 v[88:89], null, s8, v172, 0
	s_wait_alu 0xfffd
	v_add_co_ci_u32_e32 v77, vcc_lo, v5, v77, vcc_lo
	v_add_co_u32 v84, vcc_lo, v4, v85
	v_mov_b32_e32 v107, v87
	s_wait_alu 0xfffd
	v_add_co_ci_u32_e32 v85, vcc_lo, v5, v86, vcc_lo
	v_mad_co_u64_u32 v[86:87], null, s8, v171, 0
	global_store_b64 v[80:81], v[82:83], off
	v_mov_b32_e32 v80, v89
	s_clause 0x1
	global_store_b64 v[76:77], v[34:35], off
	global_store_b64 v[84:85], v[6:7], off
	v_lshlrev_b64_e32 v[6:7], 3, v[106:107]
	v_mad_co_u64_u32 v[76:77], null, s8, v169, 0
	v_mad_co_u64_u32 v[34:35], null, s9, v172, v[80:81]
	;; [unrolled: 1-line block ×3, first 2 shown]
	s_delay_alu instid0(VALU_DEP_4) | instskip(SKIP_4) | instid1(VALU_DEP_3)
	v_add_co_u32 v6, vcc_lo, v4, v6
	v_mov_b32_e32 v35, v87
	s_wait_alu 0xfffd
	v_add_co_ci_u32_e32 v7, vcc_lo, v5, v7, vcc_lo
	v_mov_b32_e32 v89, v34
	v_mad_co_u64_u32 v[34:35], null, s9, v171, v[35:36]
	v_mov_b32_e32 v35, v77
	global_store_b64 v[6:7], v[78:79], off
	v_mov_b32_e32 v6, v81
	v_lshlrev_b64_e32 v[77:78], 3, v[88:89]
	v_mad_co_u64_u32 v[81:82], null, s9, v169, v[35:36]
	s_delay_alu instid0(VALU_DEP_3) | instskip(SKIP_1) | instid1(VALU_DEP_4)
	v_mad_co_u64_u32 v[6:7], null, s9, v170, v[6:7]
	v_mov_b32_e32 v87, v34
	v_add_co_u32 v34, vcc_lo, v4, v77
	v_mad_co_u64_u32 v[82:83], null, s8, v168, 0
	v_mov_b32_e32 v77, v81
	v_mov_b32_e32 v81, v6
	v_mad_co_u64_u32 v[6:7], null, s8, v165, 0
	s_wait_alu 0xfffd
	v_add_co_ci_u32_e32 v35, vcc_lo, v5, v78, vcc_lo
	v_lshlrev_b64_e32 v[78:79], 3, v[86:87]
	v_lshlrev_b64_e32 v[76:77], 3, v[76:77]
	;; [unrolled: 1-line block ×3, first 2 shown]
	v_mad_co_u64_u32 v[84:85], null, s9, v165, v[7:8]
	v_mov_b32_e32 v7, v83
	v_add_co_u32 v78, vcc_lo, v4, v78
	s_wait_alu 0xfffd
	v_add_co_ci_u32_e32 v79, vcc_lo, v5, v79, vcc_lo
	v_add_co_u32 v76, vcc_lo, v4, v76
	v_mad_co_u64_u32 v[85:86], null, s9, v168, v[7:8]
	s_wait_alu 0xfffd
	v_add_co_ci_u32_e32 v77, vcc_lo, v5, v77, vcc_lo
	v_mad_co_u64_u32 v[86:87], null, s8, v167, 0
	v_add_co_u32 v80, vcc_lo, v4, v80
	s_wait_alu 0xfffd
	v_add_co_ci_u32_e32 v81, vcc_lo, v5, v81, vcc_lo
	v_mov_b32_e32 v7, v84
	s_clause 0x3
	global_store_b64 v[34:35], v[42:43], off
	global_store_b64 v[78:79], v[40:41], off
	;; [unrolled: 1-line block ×4, first 2 shown]
	v_mad_co_u64_u32 v[35:36], null, s8, v166, 0
	v_dual_mov_b32 v83, v85 :: v_dual_mov_b32 v34, v87
	v_lshlrev_b64_e32 v[6:7], 3, v[6:7]
	v_mad_co_u64_u32 v[42:43], null, s8, v163, 0
	s_delay_alu instid0(VALU_DEP_3) | instskip(NEXT) | instid1(VALU_DEP_4)
	v_lshlrev_b64_e32 v[37:38], 3, v[82:83]
	v_mad_co_u64_u32 v[39:40], null, s9, v167, v[34:35]
	s_delay_alu instid0(VALU_DEP_4)
	v_add_co_u32 v6, vcc_lo, v4, v6
	v_mov_b32_e32 v34, v36
	s_wait_alu 0xfffd
	v_add_co_ci_u32_e32 v7, vcc_lo, v5, v7, vcc_lo
	v_mad_co_u64_u32 v[40:41], null, s8, v164, 0
	v_add_co_u32 v36, vcc_lo, v4, v37
	s_wait_alu 0xfffd
	v_add_co_ci_u32_e32 v37, vcc_lo, v5, v38, vcc_lo
	v_mov_b32_e32 v87, v39
	v_mad_co_u64_u32 v[38:39], null, s9, v166, v[34:35]
	v_mov_b32_e32 v34, v41
	s_clause 0x1
	global_store_b64 v[6:7], v[64:65], off
	global_store_b64 v[36:37], v[32:33], off
	v_lshlrev_b64_e32 v[6:7], 3, v[86:87]
	v_mad_co_u64_u32 v[32:33], null, s9, v164, v[34:35]
	v_dual_mov_b32 v36, v38 :: v_dual_mov_b32 v33, v43
	s_delay_alu instid0(VALU_DEP_3) | instskip(SKIP_1) | instid1(VALU_DEP_4)
	v_add_co_u32 v6, vcc_lo, v4, v6
	s_wait_alu 0xfffd
	v_add_co_ci_u32_e32 v7, vcc_lo, v5, v7, vcc_lo
	s_delay_alu instid0(VALU_DEP_3) | instskip(SKIP_3) | instid1(VALU_DEP_4)
	v_lshlrev_b64_e32 v[34:35], 3, v[35:36]
	v_mov_b32_e32 v41, v32
	v_mad_co_u64_u32 v[36:37], null, s8, v162, 0
	v_mad_co_u64_u32 v[38:39], null, s8, v158, 0
	;; [unrolled: 1-line block ×3, first 2 shown]
	v_add_co_u32 v33, vcc_lo, v4, v34
	s_wait_alu 0xfffd
	v_add_co_ci_u32_e32 v34, vcc_lo, v5, v35, vcc_lo
	global_store_b64 v[6:7], v[94:95], off
	v_lshlrev_b64_e32 v[6:7], 3, v[40:41]
	v_mov_b32_e32 v43, v32
	global_store_b64 v[33:34], v[66:67], off
	v_dual_mov_b32 v32, v37 :: v_dual_mov_b32 v33, v39
	v_lshlrev_b64_e32 v[34:35], 3, v[42:43]
	v_add_co_u32 v6, vcc_lo, v4, v6
	s_delay_alu instid0(VALU_DEP_3) | instskip(SKIP_1) | instid1(VALU_DEP_4)
	v_mad_co_u64_u32 v[39:40], null, s9, v162, v[32:33]
	v_mad_co_u64_u32 v[40:41], null, s8, v161, 0
	;; [unrolled: 1-line block ×3, first 2 shown]
	s_wait_alu 0xfffd
	v_add_co_ci_u32_e32 v7, vcc_lo, v5, v7, vcc_lo
	v_add_co_u32 v33, vcc_lo, v4, v34
	s_wait_alu 0xfffd
	v_add_co_ci_u32_e32 v34, vcc_lo, v5, v35, vcc_lo
	v_mov_b32_e32 v37, v39
	v_mov_b32_e32 v39, v32
	global_store_b64 v[6:7], v[62:63], off
	v_mov_b32_e32 v6, v41
	global_store_b64 v[33:34], v[60:61], off
	v_lshlrev_b64_e32 v[32:33], 3, v[36:37]
	v_lshlrev_b64_e32 v[34:35], 3, v[38:39]
	v_mad_co_u64_u32 v[36:37], null, s8, v159, 0
	v_mad_co_u64_u32 v[6:7], null, s9, v161, v[6:7]
	v_mad_co_u64_u32 v[38:39], null, s8, v160, 0
	v_add_co_u32 v32, vcc_lo, v4, v32
	s_wait_alu 0xfffd
	v_add_co_ci_u32_e32 v33, vcc_lo, v5, v33, vcc_lo
	s_delay_alu instid0(VALU_DEP_4) | instskip(NEXT) | instid1(VALU_DEP_4)
	v_dual_mov_b32 v41, v6 :: v_dual_mov_b32 v6, v37
	v_mov_b32_e32 v7, v39
	v_add_co_u32 v34, vcc_lo, v4, v34
	s_delay_alu instid0(VALU_DEP_3)
	v_lshlrev_b64_e32 v[39:40], 3, v[40:41]
	s_wait_alu 0xfffd
	v_add_co_ci_u32_e32 v35, vcc_lo, v5, v35, vcc_lo
	v_mad_co_u64_u32 v[41:42], null, s9, v159, v[6:7]
	v_mad_co_u64_u32 v[42:43], null, s8, v157, 0
	;; [unrolled: 1-line block ×3, first 2 shown]
	v_add_co_u32 v39, vcc_lo, v4, v39
	s_wait_alu 0xfffd
	v_add_co_ci_u32_e32 v40, vcc_lo, v5, v40, vcc_lo
	s_delay_alu instid0(VALU_DEP_4)
	v_mov_b32_e32 v7, v43
	s_clause 0x1
	global_store_b64 v[32:33], v[58:59], off
	global_store_b64 v[34:35], v[103:104], off
	v_mad_co_u64_u32 v[34:35], null, s8, v156, 0
	global_store_b64 v[39:40], v[56:57], off
	v_mov_b32_e32 v39, v6
	v_mad_co_u64_u32 v[6:7], null, s9, v157, v[7:8]
	v_mul_hi_u32 v7, 0xbf112a8b, v154
	v_mov_b32_e32 v37, v41
	s_delay_alu instid0(VALU_DEP_1) | instskip(SKIP_1) | instid1(VALU_DEP_4)
	v_lshlrev_b64_e32 v[32:33], 3, v[36:37]
	v_lshlrev_b64_e32 v[36:37], 3, v[38:39]
	v_lshrrev_b32_e32 v7, 8, v7
	v_dual_mov_b32 v43, v6 :: v_dual_mov_b32 v6, v35
	v_mad_co_u64_u32 v[38:39], null, s8, v155, 0
	s_delay_alu instid0(VALU_DEP_3) | instskip(NEXT) | instid1(VALU_DEP_3)
	v_mad_u32_u24 v58, 0x80a, v7, v154
	v_lshlrev_b64_e32 v[40:41], 3, v[42:43]
	s_delay_alu instid0(VALU_DEP_4) | instskip(SKIP_1) | instid1(VALU_DEP_4)
	v_mad_co_u64_u32 v[6:7], null, s9, v156, v[6:7]
	v_add_co_u32 v32, vcc_lo, v4, v32
	v_mad_co_u64_u32 v[42:43], null, s8, v58, 0
	v_mov_b32_e32 v7, v39
	s_wait_alu 0xfffd
	v_add_co_ci_u32_e32 v33, vcc_lo, v5, v33, vcc_lo
	v_add_co_u32 v36, vcc_lo, v4, v36
	s_delay_alu instid0(VALU_DEP_3)
	v_mad_co_u64_u32 v[56:57], null, s9, v155, v[7:8]
	v_dual_mov_b32 v35, v6 :: v_dual_mov_b32 v6, v43
	s_wait_alu 0xfffd
	v_add_co_ci_u32_e32 v37, vcc_lo, v5, v37, vcc_lo
	v_add_co_u32 v39, vcc_lo, v4, v40
	v_add_nc_u32_e32 v57, 0x157, v58
	s_wait_alu 0xfffd
	v_add_co_ci_u32_e32 v40, vcc_lo, v5, v41, vcc_lo
	v_mad_co_u64_u32 v[6:7], null, s9, v58, v[6:7]
	s_clause 0x2
	global_store_b64 v[32:33], v[99:100], off
	global_store_b64 v[36:37], v[101:102], off
	;; [unrolled: 1-line block ×3, first 2 shown]
	v_lshlrev_b64_e32 v[32:33], 3, v[34:35]
	v_mad_co_u64_u32 v[34:35], null, s8, v57, 0
	v_dual_mov_b32 v39, v56 :: v_dual_add_nc_u32 v56, 0x2ae, v58
	v_mov_b32_e32 v43, v6
	s_delay_alu instid0(VALU_DEP_4) | instskip(NEXT) | instid1(VALU_DEP_3)
	v_add_co_u32 v32, vcc_lo, v4, v32
	v_lshlrev_b64_e32 v[36:37], 3, v[38:39]
	s_delay_alu instid0(VALU_DEP_4)
	v_mad_co_u64_u32 v[38:39], null, s8, v56, 0
	v_mov_b32_e32 v6, v35
	v_lshlrev_b64_e32 v[40:41], 3, v[42:43]
	s_wait_alu 0xfffd
	v_add_co_ci_u32_e32 v33, vcc_lo, v5, v33, vcc_lo
	v_add_co_u32 v36, vcc_lo, v4, v36
	v_mad_co_u64_u32 v[6:7], null, s9, v57, v[6:7]
	v_mov_b32_e32 v7, v39
	s_wait_alu 0xfffd
	v_add_co_ci_u32_e32 v37, vcc_lo, v5, v37, vcc_lo
	v_add_nc_u32_e32 v57, 0x405, v58
	v_add_co_u32 v39, vcc_lo, v4, v40
	s_wait_alu 0xfffd
	v_add_co_ci_u32_e32 v40, vcc_lo, v5, v41, vcc_lo
	v_mad_co_u64_u32 v[41:42], null, s9, v56, v[7:8]
	v_mad_co_u64_u32 v[42:43], null, s8, v57, 0
	v_mov_b32_e32 v35, v6
	s_clause 0x2
	global_store_b64 v[32:33], v[72:73], off
	global_store_b64 v[36:37], v[70:71], off
	global_store_b64 v[39:40], v[52:53], off
	v_add_nc_u32_e32 v40, 0x55c, v58
	v_dual_mov_b32 v39, v41 :: v_dual_add_nc_u32 v52, 0x6b3, v58
	v_lshlrev_b64_e32 v[6:7], 3, v[34:35]
	v_mov_b32_e32 v32, v43
	s_delay_alu instid0(VALU_DEP_4) | instskip(NEXT) | instid1(VALU_DEP_4)
	v_mad_co_u64_u32 v[33:34], null, s8, v40, 0
	v_lshlrev_b64_e32 v[35:36], 3, v[38:39]
	v_add_nc_u32_e32 v53, 0x80a, v58
	v_add_co_u32 v6, vcc_lo, v4, v6
	s_wait_alu 0xfffd
	v_add_co_ci_u32_e32 v7, vcc_lo, v5, v7, vcc_lo
	v_mad_co_u64_u32 v[37:38], null, s9, v57, v[32:33]
	v_mov_b32_e32 v32, v34
	v_mad_co_u64_u32 v[38:39], null, s8, v52, 0
	v_add_co_u32 v34, vcc_lo, v4, v35
	s_wait_alu 0xfffd
	v_add_co_ci_u32_e32 v35, vcc_lo, v5, v36, vcc_lo
	v_mad_co_u64_u32 v[40:41], null, s9, v40, v[32:33]
	s_clause 0x1
	global_store_b64 v[6:7], v[68:69], off
	global_store_b64 v[34:35], v[54:55], off
	v_mov_b32_e32 v6, v39
	v_mul_hi_u32 v32, 0xbf112a8b, v153
	v_dual_mov_b32 v43, v37 :: v_dual_mov_b32 v34, v40
	s_delay_alu instid0(VALU_DEP_3) | instskip(SKIP_1) | instid1(VALU_DEP_4)
	v_mad_co_u64_u32 v[6:7], null, s9, v52, v[6:7]
	v_mad_co_u64_u32 v[40:41], null, s8, v53, 0
	v_lshrrev_b32_e32 v7, 8, v32
	s_delay_alu instid0(VALU_DEP_4) | instskip(SKIP_2) | instid1(VALU_DEP_4)
	v_lshlrev_b64_e32 v[35:36], 3, v[42:43]
	v_lshlrev_b64_e32 v[32:33], 3, v[33:34]
	v_mov_b32_e32 v39, v6
	v_mad_u32_u24 v56, 0x80a, v7, v153
	v_mov_b32_e32 v6, v41
	v_add_co_u32 v35, vcc_lo, v4, v35
	s_delay_alu instid0(VALU_DEP_4) | instskip(NEXT) | instid1(VALU_DEP_4)
	v_lshlrev_b64_e32 v[37:38], 3, v[38:39]
	v_add_nc_u32_e32 v34, 0x157, v56
	s_delay_alu instid0(VALU_DEP_4)
	v_mad_co_u64_u32 v[6:7], null, s9, v53, v[6:7]
	v_mad_co_u64_u32 v[42:43], null, s8, v56, 0
	s_wait_alu 0xfffd
	v_add_co_ci_u32_e32 v36, vcc_lo, v5, v36, vcc_lo
	v_add_co_u32 v32, vcc_lo, v4, v32
	v_mad_co_u64_u32 v[52:53], null, s8, v34, 0
	s_wait_alu 0xfffd
	v_add_co_ci_u32_e32 v33, vcc_lo, v5, v33, vcc_lo
	v_add_co_u32 v37, vcc_lo, v4, v37
	v_mov_b32_e32 v41, v6
	s_wait_alu 0xfffd
	v_add_co_ci_u32_e32 v38, vcc_lo, v5, v38, vcc_lo
	v_mov_b32_e32 v7, v43
	s_clause 0x2
	global_store_b64 v[35:36], v[50:51], off
	global_store_b64 v[32:33], v[2:3], off
	;; [unrolled: 1-line block ×3, first 2 shown]
	v_lshlrev_b64_e32 v[1:2], 3, v[40:41]
	v_mov_b32_e32 v0, v53
	v_add_nc_u32_e32 v38, 0x2ae, v56
	v_mad_co_u64_u32 v[54:55], null, s9, v56, v[7:8]
	v_add_nc_u32_e32 v39, 0x405, v56
	s_delay_alu instid0(VALU_DEP_4) | instskip(NEXT) | instid1(VALU_DEP_4)
	v_mad_co_u64_u32 v[6:7], null, s9, v34, v[0:1]
	v_mad_co_u64_u32 v[32:33], null, s8, v38, 0
	v_add_co_u32 v0, vcc_lo, v4, v1
	v_mov_b32_e32 v43, v54
	s_wait_alu 0xfffd
	v_add_co_ci_u32_e32 v1, vcc_lo, v5, v2, vcc_lo
	s_delay_alu instid0(VALU_DEP_4) | instskip(NEXT) | instid1(VALU_DEP_3)
	v_dual_mov_b32 v53, v6 :: v_dual_mov_b32 v6, v33
	v_lshlrev_b64_e32 v[2:3], 3, v[42:43]
	v_mad_co_u64_u32 v[34:35], null, s8, v39, 0
	s_delay_alu instid0(VALU_DEP_3) | instskip(NEXT) | instid1(VALU_DEP_4)
	v_lshlrev_b64_e32 v[36:37], 3, v[52:53]
	v_mad_co_u64_u32 v[6:7], null, s9, v38, v[6:7]
	s_delay_alu instid0(VALU_DEP_4)
	v_add_co_u32 v2, vcc_lo, v4, v2
	s_wait_alu 0xfffd
	v_add_co_ci_u32_e32 v3, vcc_lo, v5, v3, vcc_lo
	v_mov_b32_e32 v7, v35
	v_add_co_u32 v35, vcc_lo, v4, v36
	s_wait_alu 0xfffd
	v_add_co_ci_u32_e32 v36, vcc_lo, v5, v37, vcc_lo
	v_add_nc_u32_e32 v37, 0x55c, v56
	v_mov_b32_e32 v33, v6
	v_mad_co_u64_u32 v[6:7], null, s9, v39, v[7:8]
	s_clause 0x2
	global_store_b64 v[0:1], v[48:49], off
	global_store_b64 v[2:3], v[28:29], off
	global_store_b64 v[35:36], v[46:47], off
	v_add_nc_u32_e32 v36, 0x6b3, v56
	v_mad_co_u64_u32 v[2:3], null, s8, v37, 0
	v_mul_hi_u32 v38, 0xbf112a8b, v152
	v_mov_b32_e32 v35, v6
	s_delay_alu instid0(VALU_DEP_4)
	v_mad_co_u64_u32 v[28:29], null, s8, v36, 0
	v_lshlrev_b64_e32 v[0:1], 3, v[32:33]
	v_add_nc_u32_e32 v39, 0x80a, v56
	v_mad_co_u64_u32 v[32:33], null, s9, v37, v[3:4]
	v_lshlrev_b64_e32 v[6:7], 3, v[34:35]
	v_lshrrev_b32_e32 v35, 8, v38
	v_mov_b32_e32 v3, v29
	v_add_co_u32 v0, vcc_lo, v4, v0
	v_mad_co_u64_u32 v[33:34], null, s8, v39, 0
	s_delay_alu instid0(VALU_DEP_4)
	v_mad_u32_u24 v38, 0x80a, v35, v152
	s_wait_alu 0xfffd
	v_add_co_ci_u32_e32 v1, vcc_lo, v5, v1, vcc_lo
	v_mad_co_u64_u32 v[35:36], null, s9, v36, v[3:4]
	v_mov_b32_e32 v3, v32
	v_mad_co_u64_u32 v[36:37], null, s8, v38, 0
	v_add_co_u32 v6, vcc_lo, v4, v6
	global_store_b64 v[0:1], v[44:45], off
	v_lshlrev_b64_e32 v[1:2], 3, v[2:3]
	s_wait_alu 0xfffd
	v_add_co_ci_u32_e32 v7, vcc_lo, v5, v7, vcc_lo
	v_dual_mov_b32 v0, v34 :: v_dual_mov_b32 v29, v35
	v_add_nc_u32_e32 v3, 0x157, v38
	global_store_b64 v[6:7], v[30:31], off
	v_mad_co_u64_u32 v[6:7], null, s9, v39, v[0:1]
	v_mov_b32_e32 v0, v37
	v_add_co_u32 v1, vcc_lo, v4, v1
	v_lshlrev_b64_e32 v[28:29], 3, v[28:29]
	s_wait_alu 0xfffd
	v_add_co_ci_u32_e32 v2, vcc_lo, v5, v2, vcc_lo
	s_delay_alu instid0(VALU_DEP_3)
	v_mad_co_u64_u32 v[30:31], null, s9, v38, v[0:1]
	v_mad_co_u64_u32 v[31:32], null, s8, v3, 0
	v_mov_b32_e32 v34, v6
	v_add_co_u32 v6, vcc_lo, v4, v28
	s_wait_alu 0xfffd
	v_add_co_ci_u32_e32 v7, vcc_lo, v5, v29, vcc_lo
	v_mov_b32_e32 v37, v30
	global_store_b64 v[1:2], v[24:25], off
	v_lshlrev_b64_e32 v[1:2], 3, v[33:34]
	v_mov_b32_e32 v0, v32
	global_store_b64 v[6:7], v[26:27], off
	v_lshlrev_b64_e32 v[6:7], 3, v[36:37]
	v_add_nc_u32_e32 v26, 0x55c, v38
	v_add_nc_u32_e32 v29, 0x6b3, v38
	v_mad_co_u64_u32 v[24:25], null, s9, v3, v[0:1]
	v_add_co_u32 v0, vcc_lo, v4, v1
	s_wait_alu 0xfffd
	v_add_co_ci_u32_e32 v1, vcc_lo, v5, v2, vcc_lo
	v_add_co_u32 v2, vcc_lo, v4, v6
	v_add_nc_u32_e32 v25, 0x2ae, v38
	s_wait_alu 0xfffd
	v_add_co_ci_u32_e32 v3, vcc_lo, v5, v7, vcc_lo
	v_mov_b32_e32 v32, v24
	v_add_nc_u32_e32 v24, 0x405, v38
	v_mad_co_u64_u32 v[6:7], null, s8, v25, 0
	s_clause 0x1
	global_store_b64 v[0:1], v[22:23], off
	global_store_b64 v[2:3], v[8:9], off
	v_mad_co_u64_u32 v[8:9], null, s8, v26, 0
	v_mad_co_u64_u32 v[2:3], null, s8, v24, 0
	v_lshlrev_b64_e32 v[0:1], 3, v[31:32]
	v_add_nc_u32_e32 v30, 0x80a, v38
	s_delay_alu instid0(VALU_DEP_4) | instskip(NEXT) | instid1(VALU_DEP_4)
	v_mad_co_u64_u32 v[22:23], null, s9, v25, v[7:8]
	v_mad_co_u64_u32 v[23:24], null, s9, v24, v[3:4]
	v_mov_b32_e32 v3, v9
	v_mad_co_u64_u32 v[24:25], null, s8, v29, 0
	v_add_co_u32 v0, vcc_lo, v4, v0
	s_wait_alu 0xfffd
	v_add_co_ci_u32_e32 v1, vcc_lo, v5, v1, vcc_lo
	v_mad_co_u64_u32 v[26:27], null, s9, v26, v[3:4]
	v_mad_co_u64_u32 v[27:28], null, s8, v30, 0
	global_store_b64 v[0:1], v[20:21], off
	v_dual_mov_b32 v0, v25 :: v_dual_mov_b32 v3, v23
	v_mov_b32_e32 v7, v22
	v_mov_b32_e32 v9, v26
	s_delay_alu instid0(VALU_DEP_3) | instskip(NEXT) | instid1(VALU_DEP_4)
	v_mad_co_u64_u32 v[0:1], null, s9, v29, v[0:1]
	v_lshlrev_b64_e32 v[2:3], 3, v[2:3]
	v_mov_b32_e32 v1, v28
	v_lshlrev_b64_e32 v[6:7], 3, v[6:7]
	v_lshlrev_b64_e32 v[8:9], 3, v[8:9]
	s_delay_alu instid0(VALU_DEP_3) | instskip(NEXT) | instid1(VALU_DEP_3)
	v_mad_co_u64_u32 v[20:21], null, s9, v30, v[1:2]
	v_add_co_u32 v6, vcc_lo, v4, v6
	v_mov_b32_e32 v25, v0
	s_wait_alu 0xfffd
	v_add_co_ci_u32_e32 v7, vcc_lo, v5, v7, vcc_lo
	v_add_co_u32 v0, vcc_lo, v4, v2
	v_mov_b32_e32 v28, v20
	s_wait_alu 0xfffd
	v_add_co_ci_u32_e32 v1, vcc_lo, v5, v3, vcc_lo
	v_lshlrev_b64_e32 v[2:3], 3, v[24:25]
	v_add_co_u32 v8, vcc_lo, v4, v8
	v_lshlrev_b64_e32 v[20:21], 3, v[27:28]
	s_wait_alu 0xfffd
	v_add_co_ci_u32_e32 v9, vcc_lo, v5, v9, vcc_lo
	s_delay_alu instid0(VALU_DEP_4)
	v_add_co_u32 v2, vcc_lo, v4, v2
	s_wait_alu 0xfffd
	v_add_co_ci_u32_e32 v3, vcc_lo, v5, v3, vcc_lo
	v_add_co_u32 v4, vcc_lo, v4, v20
	s_wait_alu 0xfffd
	v_add_co_ci_u32_e32 v5, vcc_lo, v5, v21, vcc_lo
	s_clause 0x4
	global_store_b64 v[6:7], v[18:19], off
	global_store_b64 v[0:1], v[16:17], off
	;; [unrolled: 1-line block ×5, first 2 shown]
.LBB0_15:
	s_nop 0
	s_sendmsg sendmsg(MSG_DEALLOC_VGPRS)
	s_endpgm
	.section	.rodata,"a",@progbits
	.p2align	6, 0x0
	.amdhsa_kernel fft_rtc_back_len2401_factors_7_7_7_7_wgs_49_tpt_49_halfLds_sp_ip_CI_sbrr_dirReg
		.amdhsa_group_segment_fixed_size 0
		.amdhsa_private_segment_fixed_size 0
		.amdhsa_kernarg_size 88
		.amdhsa_user_sgpr_count 2
		.amdhsa_user_sgpr_dispatch_ptr 0
		.amdhsa_user_sgpr_queue_ptr 0
		.amdhsa_user_sgpr_kernarg_segment_ptr 1
		.amdhsa_user_sgpr_dispatch_id 0
		.amdhsa_user_sgpr_private_segment_size 0
		.amdhsa_wavefront_size32 1
		.amdhsa_uses_dynamic_stack 0
		.amdhsa_enable_private_segment 0
		.amdhsa_system_sgpr_workgroup_id_x 1
		.amdhsa_system_sgpr_workgroup_id_y 0
		.amdhsa_system_sgpr_workgroup_id_z 0
		.amdhsa_system_sgpr_workgroup_info 0
		.amdhsa_system_vgpr_workitem_id 0
		.amdhsa_next_free_vgpr 239
		.amdhsa_next_free_sgpr 35
		.amdhsa_reserve_vcc 1
		.amdhsa_float_round_mode_32 0
		.amdhsa_float_round_mode_16_64 0
		.amdhsa_float_denorm_mode_32 3
		.amdhsa_float_denorm_mode_16_64 3
		.amdhsa_fp16_overflow 0
		.amdhsa_workgroup_processor_mode 1
		.amdhsa_memory_ordered 1
		.amdhsa_forward_progress 0
		.amdhsa_round_robin_scheduling 0
		.amdhsa_exception_fp_ieee_invalid_op 0
		.amdhsa_exception_fp_denorm_src 0
		.amdhsa_exception_fp_ieee_div_zero 0
		.amdhsa_exception_fp_ieee_overflow 0
		.amdhsa_exception_fp_ieee_underflow 0
		.amdhsa_exception_fp_ieee_inexact 0
		.amdhsa_exception_int_div_zero 0
	.end_amdhsa_kernel
	.text
.Lfunc_end0:
	.size	fft_rtc_back_len2401_factors_7_7_7_7_wgs_49_tpt_49_halfLds_sp_ip_CI_sbrr_dirReg, .Lfunc_end0-fft_rtc_back_len2401_factors_7_7_7_7_wgs_49_tpt_49_halfLds_sp_ip_CI_sbrr_dirReg
                                        ; -- End function
	.section	.AMDGPU.csdata,"",@progbits
; Kernel info:
; codeLenInByte = 30904
; NumSgprs: 37
; NumVgprs: 239
; ScratchSize: 0
; MemoryBound: 0
; FloatMode: 240
; IeeeMode: 1
; LDSByteSize: 0 bytes/workgroup (compile time only)
; SGPRBlocks: 4
; VGPRBlocks: 29
; NumSGPRsForWavesPerEU: 37
; NumVGPRsForWavesPerEU: 239
; Occupancy: 6
; WaveLimiterHint : 1
; COMPUTE_PGM_RSRC2:SCRATCH_EN: 0
; COMPUTE_PGM_RSRC2:USER_SGPR: 2
; COMPUTE_PGM_RSRC2:TRAP_HANDLER: 0
; COMPUTE_PGM_RSRC2:TGID_X_EN: 1
; COMPUTE_PGM_RSRC2:TGID_Y_EN: 0
; COMPUTE_PGM_RSRC2:TGID_Z_EN: 0
; COMPUTE_PGM_RSRC2:TIDIG_COMP_CNT: 0
	.text
	.p2alignl 7, 3214868480
	.fill 96, 4, 3214868480
	.type	__hip_cuid_603409e361eb7224,@object ; @__hip_cuid_603409e361eb7224
	.section	.bss,"aw",@nobits
	.globl	__hip_cuid_603409e361eb7224
__hip_cuid_603409e361eb7224:
	.byte	0                               ; 0x0
	.size	__hip_cuid_603409e361eb7224, 1

	.ident	"AMD clang version 19.0.0git (https://github.com/RadeonOpenCompute/llvm-project roc-6.4.0 25133 c7fe45cf4b819c5991fe208aaa96edf142730f1d)"
	.section	".note.GNU-stack","",@progbits
	.addrsig
	.addrsig_sym __hip_cuid_603409e361eb7224
	.amdgpu_metadata
---
amdhsa.kernels:
  - .args:
      - .actual_access:  read_only
        .address_space:  global
        .offset:         0
        .size:           8
        .value_kind:     global_buffer
      - .offset:         8
        .size:           8
        .value_kind:     by_value
      - .actual_access:  read_only
        .address_space:  global
        .offset:         16
        .size:           8
        .value_kind:     global_buffer
      - .actual_access:  read_only
        .address_space:  global
        .offset:         24
        .size:           8
        .value_kind:     global_buffer
      - .offset:         32
        .size:           8
        .value_kind:     by_value
      - .actual_access:  read_only
        .address_space:  global
        .offset:         40
        .size:           8
        .value_kind:     global_buffer
      - .actual_access:  read_only
        .address_space:  global
        .offset:         48
        .size:           8
        .value_kind:     global_buffer
      - .offset:         56
        .size:           4
        .value_kind:     by_value
      - .actual_access:  read_only
        .address_space:  global
        .offset:         64
        .size:           8
        .value_kind:     global_buffer
      - .actual_access:  read_only
        .address_space:  global
        .offset:         72
        .size:           8
        .value_kind:     global_buffer
      - .address_space:  global
        .offset:         80
        .size:           8
        .value_kind:     global_buffer
    .group_segment_fixed_size: 0
    .kernarg_segment_align: 8
    .kernarg_segment_size: 88
    .language:       OpenCL C
    .language_version:
      - 2
      - 0
    .max_flat_workgroup_size: 49
    .name:           fft_rtc_back_len2401_factors_7_7_7_7_wgs_49_tpt_49_halfLds_sp_ip_CI_sbrr_dirReg
    .private_segment_fixed_size: 0
    .sgpr_count:     37
    .sgpr_spill_count: 0
    .symbol:         fft_rtc_back_len2401_factors_7_7_7_7_wgs_49_tpt_49_halfLds_sp_ip_CI_sbrr_dirReg.kd
    .uniform_work_group_size: 1
    .uses_dynamic_stack: false
    .vgpr_count:     239
    .vgpr_spill_count: 0
    .wavefront_size: 32
    .workgroup_processor_mode: 1
amdhsa.target:   amdgcn-amd-amdhsa--gfx1201
amdhsa.version:
  - 1
  - 2
...

	.end_amdgpu_metadata
